;; amdgpu-corpus repo=ROCm/rocFFT kind=compiled arch=gfx1030 opt=O3
	.text
	.amdgcn_target "amdgcn-amd-amdhsa--gfx1030"
	.amdhsa_code_object_version 6
	.protected	bluestein_single_back_len12288_dim1_half_op_CI_CI ; -- Begin function bluestein_single_back_len12288_dim1_half_op_CI_CI
	.globl	bluestein_single_back_len12288_dim1_half_op_CI_CI
	.p2align	8
	.type	bluestein_single_back_len12288_dim1_half_op_CI_CI,@function
bluestein_single_back_len12288_dim1_half_op_CI_CI: ; @bluestein_single_back_len12288_dim1_half_op_CI_CI
; %bb.0:
	s_load_dwordx4 s[16:19], s[4:5], 0x28
	s_mov_b32 s7, 0
	s_mov_b32 s1, exec_lo
	s_waitcnt lgkmcnt(0)
	v_cmpx_lt_u64_e64 s[6:7], s[16:17]
	s_cbranch_execz .LBB0_2
; %bb.1:
	s_clause 0x1
	s_load_dwordx4 s[8:11], s[4:5], 0x18
	s_load_dwordx4 s[0:3], s[4:5], 0x0
	v_mov_b32_e32 v37, s7
	v_mov_b32_e32 v36, s6
	v_or_b32_e32 v9, 0x600, v0
	v_lshlrev_b32_e32 v44, 2, v0
	v_or_b32_e32 v10, 0x200, v0
	v_or_b32_e32 v11, 0x400, v0
	v_lshlrev_b32_e32 v62, 5, v0
	v_lshlrev_b32_e32 v68, 2, v9
	v_or_b32_e32 v77, 0x3000, v44
	v_or_b32_e32 v69, 0x4800, v44
	;; [unrolled: 1-line block ×6, first 2 shown]
	v_lshlrev_b32_e32 v79, 2, v10
	v_or_b32_e32 v70, 0x2000, v44
	v_or_b32_e32 v78, 0x3800, v44
	;; [unrolled: 1-line block ×3, first 2 shown]
	s_waitcnt lgkmcnt(0)
	s_load_dwordx4 s[12:15], s[8:9], 0x0
	s_add_u32 s6, s0, 0xc000
	s_addc_u32 s7, s1, 0
	s_clause 0x4
	global_load_dword v61, v44, s[0:1]
	global_load_dword v60, v68, s[0:1]
	;; [unrolled: 1-line block ×5, first 2 shown]
	v_or_b32_e32 v83, 0x6800, v44
	v_or_b32_e32 v75, 0x8000, v44
	;; [unrolled: 1-line block ×4, first 2 shown]
	v_lshlrev_b32_e32 v82, 2, v11
	v_or_b32_e32 v84, 0x2800, v44
	v_or_b32_e32 v85, 0x4000, v44
	;; [unrolled: 1-line block ×7, first 2 shown]
	v_lshlrev_b32_e32 v67, 5, v10
	v_lshlrev_b32_e32 v66, 5, v11
	s_waitcnt lgkmcnt(0)
	v_mad_u64_u32 v[1:2], null, s14, v36, 0
	v_mad_u64_u32 v[3:4], null, s12, v0, 0
	s_mul_i32 s9, s13, 0x1800
	s_mul_hi_u32 s14, s12, 0x1800
	s_mul_i32 s8, s12, 0x1800
	s_add_i32 s9, s14, s9
	v_lshrrev_b32_e32 v9, 8, v9
	s_load_dwordx2 s[4:5], s[4:5], 0x38
	v_mad_u64_u32 v[5:6], null, s15, v36, v[2:3]
	v_mul_u32_u24_e32 v9, 0x600, v9
	v_mad_u64_u32 v[6:7], null, s13, v0, v[4:5]
	v_mov_b32_e32 v2, v5
	s_mul_i32 s13, s13, 0xffff6000
	s_sub_i32 s13, s13, s12
	v_lshlrev_b64 v[1:2], 2, v[1:2]
	v_mov_b32_e32 v4, v6
	v_add_co_u32 v1, vcc_lo, s18, v1
	v_lshlrev_b64 v[3:4], 2, v[3:4]
	v_add_co_ci_u32_e32 v2, vcc_lo, s19, v2, vcc_lo
	v_add_co_u32 v1, vcc_lo, v1, v3
	v_add_co_ci_u32_e32 v2, vcc_lo, v2, v4, vcc_lo
	v_add_co_u32 v3, vcc_lo, v1, s8
	v_add_co_ci_u32_e32 v4, vcc_lo, s9, v2, vcc_lo
	s_clause 0x1
	global_load_dword v7, v[1:2], off
	global_load_dword v8, v[3:4], off
	v_add_co_u32 v1, vcc_lo, v3, s8
	v_add_co_ci_u32_e32 v2, vcc_lo, s9, v4, vcc_lo
	v_add_co_u32 v3, vcc_lo, v1, s8
	v_add_co_ci_u32_e32 v4, vcc_lo, s9, v2, vcc_lo
	global_load_dword v12, v[1:2], off
	v_add_co_u32 v5, vcc_lo, v3, s8
	global_load_dword v13, v[3:4], off
	v_add_co_ci_u32_e32 v6, vcc_lo, s9, v4, vcc_lo
	global_load_dword v14, v[5:6], off
	v_add_co_u32 v1, vcc_lo, v5, s8
	v_add_co_ci_u32_e32 v2, vcc_lo, s9, v6, vcc_lo
	global_load_dword v56, v71, s[0:1]
	global_load_dword v15, v[1:2], off
	v_add_co_u32 v3, vcc_lo, v1, s8
	v_add_co_ci_u32_e32 v4, vcc_lo, s9, v2, vcc_lo
	global_load_dword v55, v72, s[0:1]
	v_add_co_u32 v5, vcc_lo, v3, s8
	v_add_co_ci_u32_e32 v6, vcc_lo, s9, v4, vcc_lo
	global_load_dword v16, v[3:4], off
	global_load_dword v17, v[5:6], off
	v_mad_u64_u32 v[1:2], null, 0xffff6000, s12, v[5:6]
	v_add_nc_u32_e32 v2, s13, v2
	s_clause 0x3
	global_load_dword v54, v73, s[0:1]
	global_load_dword v53, v79, s[0:1]
	;; [unrolled: 1-line block ×4, first 2 shown]
	global_load_dword v18, v[1:2], off
	v_add_co_u32 v1, vcc_lo, v1, s8
	s_clause 0x1
	global_load_dword v50, v74, s[0:1]
	global_load_dword v49, v83, s[0:1]
	v_add_co_ci_u32_e32 v2, vcc_lo, s9, v2, vcc_lo
	v_add_co_u32 v3, vcc_lo, v1, s8
	v_add_co_ci_u32_e32 v4, vcc_lo, s9, v2, vcc_lo
	global_load_dword v19, v[1:2], off
	v_add_co_u32 v1, vcc_lo, v3, s8
	v_add_co_ci_u32_e32 v2, vcc_lo, s9, v4, vcc_lo
	global_load_dword v20, v[3:4], off
	;; [unrolled: 3-line block ×5, first 2 shown]
	global_load_dword v48, v75, s[0:1]
	v_add_co_u32 v5, vcc_lo, v3, s8
	v_add_co_ci_u32_e32 v6, vcc_lo, s9, v4, vcc_lo
	global_load_dword v24, v[3:4], off
	global_load_dword v47, v81, s[0:1]
	v_mad_u64_u32 v[1:2], null, 0xffff6000, s12, v[5:6]
	global_load_dword v5, v[5:6], off
	v_add_nc_u32_e32 v2, s13, v2
	s_clause 0x1
	global_load_dword v46, v80, s[0:1]
	global_load_dword v45, v82, s[0:1]
	global_load_dword v6, v[1:2], off
	v_add_co_u32 v1, vcc_lo, v1, s8
	v_add_co_ci_u32_e32 v2, vcc_lo, s9, v2, vcc_lo
	global_load_dword v43, v84, s[0:1]
	v_add_co_u32 v3, vcc_lo, v1, s8
	v_add_co_ci_u32_e32 v4, vcc_lo, s9, v2, vcc_lo
	global_load_dword v25, v[1:2], off
	v_add_co_u32 v1, vcc_lo, v3, s8
	v_add_co_ci_u32_e32 v2, vcc_lo, s9, v4, vcc_lo
	global_load_dword v42, v85, s[0:1]
	global_load_dword v26, v[3:4], off
	s_clause 0x1
	global_load_dword v41, v86, s[0:1]
	global_load_dword v40, v87, s[0:1]
	global_load_dword v27, v[1:2], off
	v_add_co_u32 v1, vcc_lo, v1, s8
	v_add_co_ci_u32_e32 v2, vcc_lo, s9, v2, vcc_lo
	global_load_dword v39, v90, s[0:1]
	v_add_co_u32 v3, vcc_lo, v1, s8
	v_add_co_ci_u32_e32 v4, vcc_lo, s9, v2, vcc_lo
	global_load_dword v28, v[1:2], off
	v_add_co_u32 v1, vcc_lo, v3, s8
	v_add_co_ci_u32_e32 v2, vcc_lo, s9, v4, vcc_lo
	global_load_dword v29, v[3:4], off
	;; [unrolled: 3-line block ×3, first 2 shown]
	global_load_dword v2, v[3:4], off
	s_clause 0x1
	global_load_dword v38, v96, s[0:1]
	global_load_dword v37, v95, s[0:1]
	s_load_dwordx4 s[8:11], s[10:11], 0x0
	s_waitcnt vmcnt(42)
	v_lshrrev_b32_e32 v3, 16, v7
	v_mul_f16_sdwa v4, v61, v7 dst_sel:DWORD dst_unused:UNUSED_PAD src0_sel:WORD_1 src1_sel:DWORD
	s_waitcnt vmcnt(41)
	v_lshrrev_b32_e32 v31, 16, v8
	v_mul_f16_sdwa v32, v60, v8 dst_sel:DWORD dst_unused:UNUSED_PAD src0_sel:WORD_1 src1_sel:DWORD
	v_mul_f16_sdwa v30, v61, v3 dst_sel:DWORD dst_unused:UNUSED_PAD src0_sel:WORD_1 src1_sel:DWORD
	v_fma_f16 v3, v61, v3, -v4
	v_mul_f16_sdwa v4, v60, v31 dst_sel:DWORD dst_unused:UNUSED_PAD src0_sel:WORD_1 src1_sel:DWORD
	v_fma_f16 v31, v60, v31, -v32
	v_fmac_f16_e32 v30, v61, v7
	s_waitcnt vmcnt(40)
	v_lshrrev_b32_e32 v7, 16, v12
	v_mul_f16_sdwa v32, v59, v12 dst_sel:DWORD dst_unused:UNUSED_PAD src0_sel:WORD_1 src1_sel:DWORD
	v_pack_b32_f16 v3, v30, v3
	v_fmac_f16_e32 v4, v60, v8
	s_waitcnt vmcnt(39)
	v_lshrrev_b32_e32 v30, 16, v13
	v_mul_f16_sdwa v8, v59, v7 dst_sel:DWORD dst_unused:UNUSED_PAD src0_sel:WORD_1 src1_sel:DWORD
	v_fma_f16 v7, v59, v7, -v32
	v_mul_f16_sdwa v32, v58, v13 dst_sel:DWORD dst_unused:UNUSED_PAD src0_sel:WORD_1 src1_sel:DWORD
	v_pack_b32_f16 v4, v4, v31
	s_waitcnt vmcnt(38)
	v_lshrrev_b32_e32 v31, 16, v14
	v_fmac_f16_e32 v8, v59, v12
	v_mul_f16_sdwa v12, v58, v30 dst_sel:DWORD dst_unused:UNUSED_PAD src0_sel:WORD_1 src1_sel:DWORD
	v_fma_f16 v30, v58, v30, -v32
	v_mul_f16_sdwa v32, v57, v14 dst_sel:DWORD dst_unused:UNUSED_PAD src0_sel:WORD_1 src1_sel:DWORD
	v_pack_b32_f16 v7, v8, v7
	v_fmac_f16_e32 v12, v58, v13
	v_mul_f16_sdwa v8, v57, v31 dst_sel:DWORD dst_unused:UNUSED_PAD src0_sel:WORD_1 src1_sel:DWORD
	s_waitcnt vmcnt(36)
	v_lshrrev_b32_e32 v13, 16, v15
	v_mul_f16_sdwa v33, v56, v15 dst_sel:DWORD dst_unused:UNUSED_PAD src0_sel:WORD_1 src1_sel:DWORD
	v_fma_f16 v31, v57, v31, -v32
	v_pack_b32_f16 v12, v12, v30
	v_fmac_f16_e32 v8, v57, v14
	v_mul_f16_sdwa v14, v56, v13 dst_sel:DWORD dst_unused:UNUSED_PAD src0_sel:WORD_1 src1_sel:DWORD
	v_fma_f16 v13, v56, v13, -v33
	s_waitcnt vmcnt(34)
	v_lshrrev_b32_e32 v30, 16, v16
	v_mul_f16_sdwa v32, v55, v16 dst_sel:DWORD dst_unused:UNUSED_PAD src0_sel:WORD_1 src1_sel:DWORD
	v_pack_b32_f16 v8, v8, v31
	s_waitcnt vmcnt(33)
	v_lshrrev_b32_e32 v31, 16, v17
	v_fmac_f16_e32 v14, v56, v15
	v_mul_f16_sdwa v15, v55, v30 dst_sel:DWORD dst_unused:UNUSED_PAD src0_sel:WORD_1 src1_sel:DWORD
	v_fma_f16 v30, v55, v30, -v32
	s_waitcnt vmcnt(32)
	v_mul_f16_sdwa v32, v54, v17 dst_sel:DWORD dst_unused:UNUSED_PAD src0_sel:WORD_1 src1_sel:DWORD
	v_mul_f16_sdwa v33, v54, v31 dst_sel:DWORD dst_unused:UNUSED_PAD src0_sel:WORD_1 src1_sel:DWORD
	v_pack_b32_f16 v13, v14, v13
	v_fmac_f16_e32 v15, v55, v16
	s_waitcnt vmcnt(28)
	v_lshrrev_b32_e32 v14, 16, v18
	v_fma_f16 v16, v54, v31, -v32
	v_fmac_f16_e32 v33, v54, v17
	v_mul_f16_sdwa v17, v53, v18 dst_sel:DWORD dst_unused:UNUSED_PAD src0_sel:WORD_1 src1_sel:DWORD
	v_pack_b32_f16 v15, v15, v30
	v_mul_f16_sdwa v30, v53, v14 dst_sel:DWORD dst_unused:UNUSED_PAD src0_sel:WORD_1 src1_sel:DWORD
	v_pack_b32_f16 v16, v33, v16
	v_fma_f16 v14, v53, v14, -v17
	v_fmac_f16_e32 v30, v53, v18
	s_waitcnt vmcnt(25)
	v_lshrrev_b32_e32 v31, 16, v19
	v_mul_f16_sdwa v17, v52, v19 dst_sel:DWORD dst_unused:UNUSED_PAD src0_sel:WORD_1 src1_sel:DWORD
	v_pack_b32_f16 v14, v30, v14
	v_mul_f16_sdwa v18, v52, v31 dst_sel:DWORD dst_unused:UNUSED_PAD src0_sel:WORD_1 src1_sel:DWORD
	s_waitcnt vmcnt(24)
	v_lshrrev_b32_e32 v32, 16, v20
	v_mul_f16_sdwa v33, v51, v20 dst_sel:DWORD dst_unused:UNUSED_PAD src0_sel:WORD_1 src1_sel:DWORD
	v_fma_f16 v17, v52, v31, -v17
	ds_write2st64_b32 v44, v3, v14 offset1:8
	v_fmac_f16_e32 v18, v52, v19
	v_mul_f16_sdwa v19, v51, v32 dst_sel:DWORD dst_unused:UNUSED_PAD src0_sel:WORD_1 src1_sel:DWORD
	s_waitcnt vmcnt(23)
	v_lshrrev_b32_e32 v31, 16, v21
	v_fma_f16 v30, v51, v32, -v33
	v_mul_f16_sdwa v32, v50, v21 dst_sel:DWORD dst_unused:UNUSED_PAD src0_sel:WORD_1 src1_sel:DWORD
	v_pack_b32_f16 v3, v18, v17
	v_fmac_f16_e32 v19, v51, v20
	v_mul_f16_sdwa v14, v50, v31 dst_sel:DWORD dst_unused:UNUSED_PAD src0_sel:WORD_1 src1_sel:DWORD
	s_waitcnt vmcnt(22)
	v_lshrrev_b32_e32 v17, 16, v22
	v_mul_f16_sdwa v18, v49, v22 dst_sel:DWORD dst_unused:UNUSED_PAD src0_sel:WORD_1 src1_sel:DWORD
	v_fma_f16 v20, v50, v31, -v32
	v_pack_b32_f16 v19, v19, v30
	v_fmac_f16_e32 v14, v50, v21
	v_mul_f16_sdwa v21, v49, v17 dst_sel:DWORD dst_unused:UNUSED_PAD src0_sel:WORD_1 src1_sel:DWORD
	v_fma_f16 v17, v49, v17, -v18
	s_waitcnt vmcnt(21)
	v_lshrrev_b32_e32 v18, 16, v23
	ds_write2st64_b32 v44, v7, v19 offset0:48 offset1:56
	v_pack_b32_f16 v7, v14, v20
	s_waitcnt vmcnt(19)
	v_lshrrev_b32_e32 v14, 16, v24
	v_mul_f16_sdwa v30, v48, v23 dst_sel:DWORD dst_unused:UNUSED_PAD src0_sel:WORD_1 src1_sel:DWORD
	v_fmac_f16_e32 v21, v49, v22
	v_mul_f16_sdwa v19, v48, v18 dst_sel:DWORD dst_unused:UNUSED_PAD src0_sel:WORD_1 src1_sel:DWORD
	s_waitcnt vmcnt(18)
	v_mul_f16_sdwa v20, v47, v24 dst_sel:DWORD dst_unused:UNUSED_PAD src0_sel:WORD_1 src1_sel:DWORD
	v_mul_f16_sdwa v22, v47, v14 dst_sel:DWORD dst_unused:UNUSED_PAD src0_sel:WORD_1 src1_sel:DWORD
	v_fma_f16 v18, v48, v18, -v30
	v_pack_b32_f16 v17, v21, v17
	v_fmac_f16_e32 v19, v48, v23
	s_waitcnt vmcnt(17)
	v_lshrrev_b32_e32 v21, 16, v5
	v_fma_f16 v14, v47, v14, -v20
	v_fmac_f16_e32 v22, v47, v24
	s_waitcnt vmcnt(16)
	v_mul_f16_sdwa v20, v46, v5 dst_sel:DWORD dst_unused:UNUSED_PAD src0_sel:WORD_1 src1_sel:DWORD
	ds_write2st64_b32 v44, v8, v17 offset0:96 offset1:104
	v_mul_f16_sdwa v8, v46, v21 dst_sel:DWORD dst_unused:UNUSED_PAD src0_sel:WORD_1 src1_sel:DWORD
	v_pack_b32_f16 v17, v19, v18
	v_pack_b32_f16 v14, v22, v14
	s_waitcnt vmcnt(14)
	v_lshrrev_b32_e32 v18, 16, v6
	v_fma_f16 v19, v46, v21, -v20
	v_fmac_f16_e32 v8, v46, v5
	v_mul_f16_sdwa v5, v45, v6 dst_sel:DWORD dst_unused:UNUSED_PAD src0_sel:WORD_1 src1_sel:DWORD
	ds_write2st64_b32 v44, v15, v14 offset0:144 offset1:152
	v_mul_f16_sdwa v14, v45, v18 dst_sel:DWORD dst_unused:UNUSED_PAD src0_sel:WORD_1 src1_sel:DWORD
	s_waitcnt vmcnt(12)
	v_lshrrev_b32_e32 v15, 16, v25
	v_pack_b32_f16 v8, v8, v19
	v_fma_f16 v5, v45, v18, -v5
	v_mul_f16_sdwa v18, v43, v25 dst_sel:DWORD dst_unused:UNUSED_PAD src0_sel:WORD_1 src1_sel:DWORD
	v_fmac_f16_e32 v14, v45, v6
	v_mul_f16_sdwa v6, v43, v15 dst_sel:DWORD dst_unused:UNUSED_PAD src0_sel:WORD_1 src1_sel:DWORD
	s_waitcnt vmcnt(10)
	v_lshrrev_b32_e32 v19, 16, v26
	v_mul_f16_sdwa v20, v42, v26 dst_sel:DWORD dst_unused:UNUSED_PAD src0_sel:WORD_1 src1_sel:DWORD
	v_fma_f16 v15, v43, v15, -v18
	v_pack_b32_f16 v5, v14, v5
	v_fmac_f16_e32 v6, v43, v25
	v_mul_f16_sdwa v14, v42, v19 dst_sel:DWORD dst_unused:UNUSED_PAD src0_sel:WORD_1 src1_sel:DWORD
	v_fma_f16 v18, v42, v19, -v20
	s_waitcnt vmcnt(7)
	v_lshrrev_b32_e32 v19, 16, v27
	v_mul_f16_sdwa v20, v41, v27 dst_sel:DWORD dst_unused:UNUSED_PAD src0_sel:WORD_1 src1_sel:DWORD
	ds_write2st64_b32 v44, v5, v4 offset0:16 offset1:24
	v_pack_b32_f16 v4, v6, v15
	v_fmac_f16_e32 v14, v42, v26
	v_mul_f16_sdwa v5, v41, v19 dst_sel:DWORD dst_unused:UNUSED_PAD src0_sel:WORD_1 src1_sel:DWORD
	v_fma_f16 v6, v41, v19, -v20
	s_waitcnt vmcnt(5)
	v_lshrrev_b32_e32 v15, 16, v28
	v_mul_f16_sdwa v19, v40, v28 dst_sel:DWORD dst_unused:UNUSED_PAD src0_sel:WORD_1 src1_sel:DWORD
	ds_write2st64_b32 v44, v3, v4 offset0:32 offset1:40
	v_pack_b32_f16 v3, v14, v18
	s_waitcnt vmcnt(4)
	v_mul_f16_sdwa v18, v39, v29 dst_sel:DWORD dst_unused:UNUSED_PAD src0_sel:WORD_1 src1_sel:DWORD
	v_mul_f16_sdwa v4, v40, v15 dst_sel:DWORD dst_unused:UNUSED_PAD src0_sel:WORD_1 src1_sel:DWORD
	v_fma_f16 v14, v40, v15, -v19
	v_lshrrev_b32_e32 v15, 16, v29
	ds_write2st64_b32 v44, v3, v12 offset0:64 offset1:72
	s_waitcnt vmcnt(3)
	v_lshrrev_b32_e32 v3, 16, v1
	s_waitcnt vmcnt(2)
	v_lshrrev_b32_e32 v19, 16, v2
	s_waitcnt vmcnt(0)
	v_mul_f16_sdwa v21, v37, v2 dst_sel:DWORD dst_unused:UNUSED_PAD src0_sel:WORD_1 src1_sel:DWORD
	v_mul_f16_sdwa v12, v39, v15 dst_sel:DWORD dst_unused:UNUSED_PAD src0_sel:WORD_1 src1_sel:DWORD
	v_fma_f16 v15, v39, v15, -v18
	v_mul_f16_sdwa v18, v38, v1 dst_sel:DWORD dst_unused:UNUSED_PAD src0_sel:WORD_1 src1_sel:DWORD
	v_mul_f16_sdwa v20, v38, v3 dst_sel:DWORD dst_unused:UNUSED_PAD src0_sel:WORD_1 src1_sel:DWORD
	;; [unrolled: 1-line block ×3, first 2 shown]
	v_fmac_f16_e32 v5, v41, v27
	v_fmac_f16_e32 v4, v40, v28
	;; [unrolled: 1-line block ×3, first 2 shown]
	v_fma_f16 v3, v38, v3, -v18
	v_fmac_f16_e32 v20, v38, v1
	v_fma_f16 v1, v37, v19, -v21
	v_fmac_f16_e32 v22, v37, v2
	v_pack_b32_f16 v2, v5, v6
	v_pack_b32_f16 v4, v4, v14
	;; [unrolled: 1-line block ×5, first 2 shown]
	ds_write2st64_b32 v44, v7, v2 offset0:80 offset1:88
	ds_write2st64_b32 v44, v4, v13 offset0:112 offset1:120
	ds_write2st64_b32 v44, v17, v5 offset0:128 offset1:136
	ds_write2st64_b32 v44, v3, v16 offset0:160 offset1:168
	ds_write2st64_b32 v44, v8, v1 offset0:176 offset1:184
	s_waitcnt lgkmcnt(0)
	s_barrier
	buffer_gl0_inv
	ds_read2st64_b32 v[1:2], v44 offset1:8
	ds_read2st64_b32 v[3:4], v44 offset0:16 offset1:24
	ds_read2st64_b32 v[7:8], v44 offset0:48 offset1:56
	ds_read2st64_b32 v[12:13], v44 offset0:64 offset1:72
	ds_read2st64_b32 v[14:15], v44 offset0:32 offset1:40
	ds_read2st64_b32 v[16:17], v44 offset0:80 offset1:88
	ds_read2st64_b32 v[18:19], v44 offset0:96 offset1:104
	ds_read2st64_b32 v[20:21], v44 offset0:112 offset1:120
	ds_read2st64_b32 v[22:23], v44 offset0:144 offset1:152
	ds_read2st64_b32 v[24:25], v44 offset0:160 offset1:168
	ds_read2st64_b32 v[26:27], v44 offset0:128 offset1:136
	ds_read2st64_b32 v[28:29], v44 offset0:176 offset1:184
	v_and_b32_e32 v6, 7, v0
	s_waitcnt lgkmcnt(0)
	s_barrier
	buffer_gl0_inv
	v_mad_u64_u32 v[32:33], null, v6, 28, s[2:3]
	v_lshrrev_b32_e32 v5, 16, v1
	v_lshrrev_b32_e32 v30, 16, v4
	;; [unrolled: 1-line block ×8, first 2 shown]
	v_sub_f16_e32 v93, v1, v18
	v_sub_f16_e32 v94, v7, v22
	;; [unrolled: 1-line block ×4, first 2 shown]
	v_lshrrev_b32_e32 v88, 16, v3
	v_lshrrev_b32_e32 v89, 16, v15
	;; [unrolled: 1-line block ×4, first 2 shown]
	v_sub_f16_e32 v99, v2, v19
	v_sub_f16_e32 v100, v8, v23
	;; [unrolled: 1-line block ×8, first 2 shown]
	v_sub_f16_sdwa v18, v5, v18 dst_sel:DWORD dst_unused:UNUSED_PAD src0_sel:DWORD src1_sel:WORD_1
	v_sub_f16_sdwa v22, v31, v22 dst_sel:DWORD dst_unused:UNUSED_PAD src0_sel:DWORD src1_sel:WORD_1
	v_sub_f16_sdwa v21, v30, v21 dst_sel:DWORD dst_unused:UNUSED_PAD src0_sel:DWORD src1_sel:WORD_1
	v_sub_f16_sdwa v25, v34, v25 dst_sel:DWORD dst_unused:UNUSED_PAD src0_sel:DWORD src1_sel:WORD_1
	v_fma_f16 v1, v1, 2.0, -v93
	v_fma_f16 v7, v7, 2.0, -v94
	v_fma_f16 v4, v4, 2.0, -v97
	v_fma_f16 v13, v13, 2.0, -v98
	v_sub_f16_sdwa v19, v35, v19 dst_sel:DWORD dst_unused:UNUSED_PAD src0_sel:DWORD src1_sel:WORD_1
	v_sub_f16_sdwa v23, v64, v23 dst_sel:DWORD dst_unused:UNUSED_PAD src0_sel:DWORD src1_sel:WORD_1
	v_sub_f16_sdwa v26, v63, v26 dst_sel:DWORD dst_unused:UNUSED_PAD src0_sel:DWORD src1_sel:WORD_1
	v_sub_f16_sdwa v28, v65, v28 dst_sel:DWORD dst_unused:UNUSED_PAD src0_sel:DWORD src1_sel:WORD_1
	v_fma_f16 v2, v2, 2.0, -v99
	v_fma_f16 v8, v8, 2.0, -v100
	v_fma_f16 v14, v14, 2.0, -v101
	v_fma_f16 v16, v16, 2.0, -v102
	;; [unrolled: 8-line block ×3, first 2 shown]
	v_fma_f16 v5, v5, 2.0, -v18
	v_fma_f16 v31, v31, 2.0, -v22
	v_fma_f16 v30, v30, 2.0, -v21
	v_fma_f16 v34, v34, 2.0, -v25
	v_sub_f16_e32 v22, v93, v22
	v_add_f16_e32 v94, v18, v94
	v_sub_f16_e32 v25, v97, v25
	v_add_f16_e32 v98, v21, v98
	v_sub_f16_e32 v7, v1, v7
	v_sub_f16_e32 v13, v4, v13
	v_fma_f16 v35, v35, 2.0, -v19
	v_fma_f16 v64, v64, 2.0, -v23
	v_fma_f16 v63, v63, 2.0, -v26
	v_fma_f16 v65, v65, 2.0, -v28
	v_sub_f16_e32 v23, v99, v23
	v_add_f16_e32 v100, v19, v100
	v_sub_f16_e32 v28, v101, v28
	v_add_f16_e32 v102, v26, v102
	v_sub_f16_e32 v8, v2, v8
	v_sub_f16_e32 v16, v14, v16
	;; [unrolled: 10-line block ×3, first 2 shown]
	v_sub_f16_e32 v31, v5, v31
	v_fma_f16 v93, v93, 2.0, -v22
	v_fma_f16 v107, v18, 2.0, -v94
	v_sub_f16_e32 v18, v30, v34
	v_fma_f16 v34, v97, 2.0, -v25
	v_fma_f16 v21, v21, 2.0, -v98
	;; [unrolled: 1-line block ×4, first 2 shown]
	v_fmamk_f16 v97, v25, 0x39a8, v22
	v_fmamk_f16 v108, v98, 0x39a8, v94
	v_sub_f16_e32 v64, v35, v64
	v_fma_f16 v99, v99, 2.0, -v23
	v_fma_f16 v109, v19, 2.0, -v100
	v_sub_f16_e32 v19, v63, v65
	v_fma_f16 v65, v101, 2.0, -v28
	v_fma_f16 v26, v26, 2.0, -v102
	;; [unrolled: 1-line block ×4, first 2 shown]
	v_fmamk_f16 v101, v28, 0x39a8, v23
	v_fmamk_f16 v110, v102, 0x39a8, v100
	v_sub_f16_e32 v91, v88, v91
	v_fma_f16 v103, v103, 2.0, -v24
	v_fma_f16 v20, v20, 2.0, -v104
	v_sub_f16_e32 v92, v89, v92
	v_fma_f16 v105, v105, 2.0, -v29
	v_fma_f16 v27, v27, 2.0, -v106
	v_fma_f16 v3, v3, 2.0, -v12
	v_fma_f16 v15, v15, 2.0, -v17
	v_fmamk_f16 v112, v106, 0x39a8, v104
	v_fma_f16 v5, v5, 2.0, -v31
	v_fma_f16 v30, v30, 2.0, -v18
	v_fmamk_f16 v114, v34, 0xb9a8, v93
	v_fmamk_f16 v115, v21, 0xb9a8, v107
	;; [unrolled: 1-line block ×3, first 2 shown]
	v_sub_f16_e32 v113, v1, v4
	v_fmac_f16_e32 v97, 0xb9a8, v98
	v_fmac_f16_e32 v108, 0x39a8, v25
	v_fma_f16 v25, v35, 2.0, -v64
	v_fma_f16 v4, v63, 2.0, -v19
	v_fmamk_f16 v63, v65, 0xb9a8, v99
	v_fmamk_f16 v98, v26, 0xb9a8, v109
	v_sub_f16_e32 v35, v2, v14
	v_sub_f16_e32 v14, v8, v19
	v_fmac_f16_e32 v101, 0xb9a8, v102
	v_fmac_f16_e32 v110, 0x39a8, v28
	v_fma_f16 v28, v88, 2.0, -v91
	v_fma_f16 v19, v89, 2.0, -v92
	v_fmamk_f16 v89, v105, 0xb9a8, v103
	v_fmamk_f16 v102, v27, 0xb9a8, v20
	v_sub_f16_e32 v18, v7, v18
	v_add_f16_e32 v13, v31, v13
	v_add_f16_e32 v16, v64, v16
	v_sub_f16_e32 v88, v3, v15
	v_sub_f16_e32 v92, v12, v92
	v_add_f16_e32 v17, v91, v17
	v_fmac_f16_e32 v112, 0x39a8, v29
	v_sub_f16_e32 v29, v5, v30
	v_fmac_f16_e32 v114, 0xb9a8, v21
	v_fmac_f16_e32 v115, 0x39a8, v34
	;; [unrolled: 1-line block ×3, first 2 shown]
	v_sub_f16_e32 v30, v25, v4
	v_fmac_f16_e32 v63, 0xb9a8, v26
	v_fmac_f16_e32 v98, 0x39a8, v65
	v_sub_f16_e32 v65, v28, v19
	v_fmac_f16_e32 v89, 0xb9a8, v27
	v_fmac_f16_e32 v102, 0x39a8, v105
	v_fma_f16 v106, v1, 2.0, -v113
	v_fma_f16 v1, v7, 2.0, -v18
	;; [unrolled: 1-line block ×9, first 2 shown]
	v_pack_b32_f16 v3, v18, v13
	v_pack_b32_f16 v18, v92, v17
	v_fma_f16 v5, v5, 2.0, -v29
	v_fma_f16 v92, v93, 2.0, -v114
	;; [unrolled: 1-line block ×8, first 2 shown]
	v_pack_b32_f16 v4, v97, v108
	v_fma_f16 v97, v25, 2.0, -v30
	v_fma_f16 v25, v99, 2.0, -v63
	;; [unrolled: 1-line block ×4, first 2 shown]
	v_pack_b32_f16 v15, v101, v110
	v_fma_f16 v28, v28, 2.0, -v65
	v_fma_f16 v101, v103, 2.0, -v89
	;; [unrolled: 1-line block ×3, first 2 shown]
	v_pack_b32_f16 v14, v14, v16
	v_pack_b32_f16 v23, v21, v22
	;; [unrolled: 1-line block ×20, first 2 shown]
	ds_write_b128 v62, v[1:4] offset:16
	ds_write_b128 v67, v[12:15] offset:16
	;; [unrolled: 1-line block ×3, first 2 shown]
	ds_write_b128 v62, v[20:23]
	ds_write_b128 v62, v[24:27] offset:16384
	ds_write_b128 v62, v[28:31] offset:32768
	s_waitcnt lgkmcnt(0)
	s_barrier
	buffer_gl0_inv
	s_clause 0x1
	global_load_dwordx4 v[1:4], v[32:33], off
	global_load_dwordx3 v[21:23], v[32:33], off offset:16
	v_lshlrev_b32_e32 v7, 3, v0
	v_lshlrev_b32_e32 v8, 3, v10
	;; [unrolled: 1-line block ×3, first 2 shown]
	v_and_b32_e32 v5, 63, v0
	v_lshrrev_b32_e32 v10, 8, v10
	v_and_or_b32 v20, 0xfc0, v7, v6
	v_and_or_b32 v8, 0x1fc0, v8, v6
	;; [unrolled: 1-line block ×3, first 2 shown]
	ds_read2st64_b32 v[6:7], v44 offset0:48 offset1:56
	ds_read2st64_b32 v[12:13], v44 offset0:64 offset1:72
	ds_read2st64_b32 v[14:15], v44 offset0:96 offset1:104
	ds_read2st64_b32 v[16:17], v44 offset0:112 offset1:120
	ds_read2st64_b32 v[18:19], v44 offset0:144 offset1:152
	ds_read2st64_b32 v[24:25], v44 offset0:32 offset1:40
	ds_read2st64_b32 v[26:27], v44 offset0:80 offset1:88
	ds_read2st64_b32 v[28:29], v44 offset0:128 offset1:136
	ds_read2st64_b32 v[32:33], v44 offset1:8
	ds_read2st64_b32 v[34:35], v44 offset0:16 offset1:24
	ds_read2st64_b32 v[88:89], v44 offset0:160 offset1:168
	;; [unrolled: 1-line block ×3, first 2 shown]
	v_lshlrev_b32_e32 v64, 2, v20
	v_lshlrev_b32_e32 v63, 2, v8
	;; [unrolled: 1-line block ×3, first 2 shown]
	v_mad_u64_u32 v[30:31], null, v5, 12, s[2:3]
	s_waitcnt vmcnt(0) lgkmcnt(0)
	s_barrier
	buffer_gl0_inv
	v_lshrrev_b32_e32 v11, 8, v11
	v_mul_u32_u24_e32 v10, 0x600, v10
	v_lshrrev_b32_e32 v8, 16, v6
	v_lshrrev_b32_e32 v20, 16, v13
	;; [unrolled: 1-line block ×24, first 2 shown]
	v_mul_u32_u24_e32 v11, 0x600, v11
	v_mul_f16_sdwa v117, v8, v2 dst_sel:DWORD dst_unused:UNUSED_PAD src0_sel:DWORD src1_sel:WORD_1
	v_mul_f16_sdwa v118, v6, v2 dst_sel:DWORD dst_unused:UNUSED_PAD src0_sel:DWORD src1_sel:WORD_1
	;; [unrolled: 1-line block ×42, first 2 shown]
	v_fma_f16 v6, v6, v2, -v117
	v_fma_f16 v14, v14, v4, -v121
	;; [unrolled: 1-line block ×5, first 2 shown]
	v_fmac_f16_e32 v118, v8, v2
	v_fmac_f16_e32 v120, v20, v3
	v_fmac_f16_e32 v122, v93, v4
	v_fmac_f16_e32 v124, v94, v21
	v_fmac_f16_e32 v126, v97, v22
	v_fmac_f16_e32 v149, v109, v23
	v_fma_f16 v8, v89, v23, -v150
	v_fmac_f16_e32 v153, v112, v1
	v_fma_f16 v35, v35, v1, -v155
	v_fma_f16 v7, v7, v2, -v129
	;; [unrolled: 1-line block ×8, first 2 shown]
	v_fmac_f16_e32 v128, v98, v1
	v_fmac_f16_e32 v130, v99, v2
	;; [unrolled: 1-line block ×7, first 2 shown]
	v_fma_f16 v88, v91, v23, -v156
	v_fma_f16 v25, v25, v1, -v138
	;; [unrolled: 1-line block ×6, first 2 shown]
	v_fmac_f16_e32 v141, v104, v1
	v_fmac_f16_e32 v143, v105, v2
	;; [unrolled: 1-line block ×6, first 2 shown]
	v_fma_f16 v89, v92, v23, -v157
	v_fmac_f16_e32 v158, v116, v23
	v_sub_f16_e32 v14, v32, v14
	v_sub_f16_e32 v91, v111, v122
	;; [unrolled: 1-line block ×24, first 2 shown]
	v_fma_f16 v32, v32, 2.0, -v14
	v_fma_f16 v105, v111, 2.0, -v91
	v_fma_f16 v6, v6, 2.0, -v18
	v_fma_f16 v106, v118, 2.0, -v92
	v_fma_f16 v35, v35, 2.0, -v17
	v_fma_f16 v107, v153, 2.0, -v93
	v_fma_f16 v13, v13, 2.0, -v8
	v_fma_f16 v108, v120, 2.0, -v94
	v_sub_f16_e32 v92, v14, v92
	v_add_f16_e32 v18, v91, v18
	v_sub_f16_e32 v94, v17, v94
	v_add_f16_e32 v8, v93, v8
	v_fma_f16 v33, v33, 2.0, -v15
	v_fma_f16 v109, v113, 2.0, -v97
	v_fma_f16 v7, v7, 2.0, -v19
	v_fma_f16 v110, v130, 2.0, -v98
	v_fma_f16 v24, v24, 2.0, -v28
	v_fma_f16 v111, v128, 2.0, -v99
	v_fma_f16 v26, v26, 2.0, -v88
	v_fma_f16 v112, v132, 2.0, -v100
	v_sub_f16_e32 v98, v15, v98
	v_add_f16_e32 v19, v97, v19
	v_sub_f16_e32 v100, v28, v100
	v_add_f16_e32 v88, v99, v88
	;; [unrolled: 12-line block ×3, first 2 shown]
	v_sub_f16_e32 v6, v32, v6
	v_sub_f16_e32 v106, v105, v106
	v_fma_f16 v14, v14, 2.0, -v92
	v_fma_f16 v91, v91, 2.0, -v18
	v_sub_f16_e32 v13, v35, v13
	v_sub_f16_e32 v108, v107, v108
	v_fma_f16 v17, v17, 2.0, -v94
	v_fma_f16 v93, v93, 2.0, -v8
	v_fmamk_f16 v117, v94, 0x39a8, v92
	v_fmamk_f16 v118, v8, 0x39a8, v18
	v_sub_f16_e32 v7, v33, v7
	v_sub_f16_e32 v110, v109, v110
	v_fma_f16 v15, v15, 2.0, -v98
	v_fma_f16 v97, v97, 2.0, -v19
	v_sub_f16_e32 v26, v24, v26
	v_sub_f16_e32 v112, v111, v112
	v_fma_f16 v28, v28, 2.0, -v100
	v_fma_f16 v99, v99, 2.0, -v88
	v_fmamk_f16 v119, v100, 0x39a8, v98
	v_fmamk_f16 v120, v88, 0x39a8, v19
	;; [unrolled: 10-line block ×3, first 2 shown]
	v_fma_f16 v32, v32, 2.0, -v6
	v_fma_f16 v105, v105, 2.0, -v106
	v_fma_f16 v35, v35, 2.0, -v13
	v_fma_f16 v107, v107, 2.0, -v108
	v_fmac_f16_e32 v117, 0xb9a8, v8
	v_fmamk_f16 v8, v17, 0xb9a8, v14
	v_fmac_f16_e32 v118, 0x39a8, v94
	v_fmamk_f16 v94, v93, 0xb9a8, v91
	v_sub_f16_e32 v108, v6, v108
	v_add_f16_e32 v13, v106, v13
	v_fma_f16 v33, v33, 2.0, -v7
	v_fma_f16 v109, v109, 2.0, -v110
	v_fma_f16 v24, v24, 2.0, -v26
	v_fma_f16 v111, v111, 2.0, -v112
	v_fmac_f16_e32 v119, 0xb9a8, v88
	v_fmamk_f16 v88, v28, 0xb9a8, v15
	v_fmac_f16_e32 v120, 0x39a8, v100
	v_fmamk_f16 v100, v99, 0xb9a8, v97
	v_sub_f16_e32 v112, v7, v112
	v_add_f16_e32 v26, v110, v26
	;; [unrolled: 10-line block ×3, first 2 shown]
	v_sub_f16_e32 v35, v32, v35
	v_sub_f16_e32 v107, v105, v107
	v_fmac_f16_e32 v8, 0xb9a8, v93
	v_fmac_f16_e32 v94, 0x39a8, v17
	v_fma_f16 v6, v6, 2.0, -v108
	v_fma_f16 v17, v106, 2.0, -v13
	;; [unrolled: 1-line block ×4, first 2 shown]
	v_sub_f16_e32 v24, v33, v24
	v_sub_f16_e32 v93, v109, v111
	v_fmac_f16_e32 v88, 0xb9a8, v99
	v_fmac_f16_e32 v100, 0x39a8, v28
	v_fma_f16 v7, v7, 2.0, -v112
	v_fma_f16 v28, v110, 2.0, -v26
	;; [unrolled: 1-line block ×4, first 2 shown]
	v_sub_f16_e32 v25, v34, v25
	v_sub_f16_e32 v99, v113, v115
	v_fmac_f16_e32 v89, 0xb9a8, v103
	v_fmac_f16_e32 v104, 0x39a8, v29
	v_pack_b32_f16 v13, v108, v13
	v_pack_b32_f16 v103, v117, v118
	v_fma_f16 v12, v12, 2.0, -v116
	v_fma_f16 v29, v114, 2.0, -v27
	;; [unrolled: 1-line block ×4, first 2 shown]
	v_pack_b32_f16 v26, v112, v26
	v_pack_b32_f16 v106, v119, v120
	;; [unrolled: 1-line block ×4, first 2 shown]
	v_fma_f16 v32, v32, 2.0, -v35
	v_fma_f16 v105, v105, 2.0, -v107
	;; [unrolled: 1-line block ×8, first 2 shown]
	v_pack_b32_f16 v6, v6, v17
	v_pack_b32_f16 v17, v92, v18
	v_fma_f16 v34, v34, 2.0, -v25
	v_fma_f16 v110, v113, 2.0, -v99
	;; [unrolled: 1-line block ×4, first 2 shown]
	v_pack_b32_f16 v18, v35, v107
	v_pack_b32_f16 v8, v8, v94
	ds_write2_b32 v64, v13, v103 offset0:48 offset1:56
	v_pack_b32_f16 v7, v7, v28
	v_pack_b32_f16 v13, v98, v19
	;; [unrolled: 1-line block ×6, first 2 shown]
	ds_write2_b32 v63, v26, v106 offset0:48 offset1:56
	v_pack_b32_f16 v25, v25, v99
	v_pack_b32_f16 v26, v89, v104
	ds_write2_b32 v65, v27, v108 offset0:48 offset1:56
	v_pack_b32_f16 v27, v32, v105
	v_pack_b32_f16 v14, v14, v91
	ds_write2_b32 v64, v6, v17 offset0:16 offset1:24
	ds_write2_b32 v64, v18, v8 offset0:32 offset1:40
	v_pack_b32_f16 v6, v33, v109
	v_pack_b32_f16 v8, v15, v97
	ds_write2_b32 v63, v7, v13 offset0:16 offset1:24
	;; [unrolled: 4-line block ×3, first 2 shown]
	ds_write2_b32 v65, v25, v26 offset0:32 offset1:40
	ds_write2_b32 v64, v27, v14 offset1:8
	ds_write2_b32 v63, v6, v8 offset1:8
	;; [unrolled: 1-line block ×3, first 2 shown]
	s_waitcnt lgkmcnt(0)
	s_barrier
	buffer_gl0_inv
	global_load_dwordx3 v[24:26], v[30:31], off offset:224
	v_and_or_b32 v6, 0x700, v44, v5
	v_and_or_b32 v7, 0x1700, v82, v5
	;; [unrolled: 1-line block ×5, first 2 shown]
	v_lshlrev_b32_e32 v88, 2, v6
	v_and_or_b32 v6, 0xf00, v79, v5
	v_lshlrev_b32_e32 v93, 2, v7
	v_lshlrev_b32_e32 v92, 2, v15
	v_lshlrev_b32_e32 v91, 2, v16
	v_lshlrev_b32_e32 v89, 2, v17
	v_lshlrev_b32_e32 v94, 2, v6
	ds_read2st64_b32 v[5:6], v44 offset0:48 offset1:56
	ds_read2st64_b32 v[7:8], v44 offset0:96 offset1:104
	;; [unrolled: 1-line block ×9, first 2 shown]
	ds_read2st64_b32 v[97:98], v44 offset1:8
	ds_read2st64_b32 v[99:100], v44 offset0:16 offset1:24
	ds_read2st64_b32 v[101:102], v44 offset0:32 offset1:40
	v_and_b32_e32 v12, 0xff, v0
	s_waitcnt vmcnt(0) lgkmcnt(0)
	s_barrier
	buffer_gl0_inv
	v_mad_u64_u32 v[27:28], null, v12, 20, s[2:3]
	v_or_b32_e32 v10, v10, v12
	v_or_b32_e32 v11, v11, v12
	;; [unrolled: 1-line block ×3, first 2 shown]
	v_lshrrev_b32_e32 v114, 16, v29
	v_lshrrev_b32_e32 v35, 16, v5
	;; [unrolled: 1-line block ×24, first 2 shown]
	v_mul_f16_sdwa v126, v35, v24 dst_sel:DWORD dst_unused:UNUSED_PAD src0_sel:DWORD src1_sel:WORD_1
	v_mul_f16_sdwa v127, v5, v24 dst_sel:DWORD dst_unused:UNUSED_PAD src0_sel:DWORD src1_sel:WORD_1
	;; [unrolled: 1-line block ×36, first 2 shown]
	v_fma_f16 v5, v5, v24, -v126
	v_fma_f16 v6, v6, v24, -v132
	;; [unrolled: 1-line block ×6, first 2 shown]
	v_fmac_f16_e32 v127, v35, v24
	v_fmac_f16_e32 v129, v103, v25
	;; [unrolled: 1-line block ×6, first 2 shown]
	v_fma_f16 v15, v15, v24, -v138
	v_fma_f16 v19, v19, v26, -v142
	v_fmac_f16_e32 v141, v109, v25
	v_fma_f16 v17, v17, v25, -v140
	v_fmac_f16_e32 v139, v108, v24
	v_fmac_f16_e32 v143, v110, v26
	v_fma_f16 v16, v16, v24, -v144
	v_fma_f16 v18, v18, v25, -v146
	;; [unrolled: 1-line block ×3, first 2 shown]
	v_fmac_f16_e32 v145, v111, v24
	v_fmac_f16_e32 v147, v112, v25
	;; [unrolled: 1-line block ×3, first 2 shown]
	v_fma_f16 v29, v29, v24, -v149
	v_fma_f16 v30, v30, v24, -v150
	;; [unrolled: 1-line block ×6, first 2 shown]
	v_fmac_f16_e32 v152, v114, v24
	v_fmac_f16_e32 v156, v115, v25
	;; [unrolled: 1-line block ×6, first 2 shown]
	v_sub_f16_e32 v7, v97, v7
	v_sub_f16_e32 v35, v120, v129
	;; [unrolled: 1-line block ×24, first 2 shown]
	v_fma_f16 v97, v97, 2.0, -v7
	v_fma_f16 v5, v5, 2.0, -v13
	;; [unrolled: 1-line block ×3, first 2 shown]
	v_sub_f16_e32 v103, v7, v103
	v_add_f16_e32 v13, v35, v13
	v_fma_f16 v115, v120, 2.0, -v35
	v_fma_f16 v6, v6, 2.0, -v14
	;; [unrolled: 1-line block ×3, first 2 shown]
	v_sub_f16_e32 v105, v8, v105
	v_add_f16_e32 v14, v104, v14
	v_fma_f16 v98, v98, 2.0, -v8
	v_fma_f16 v116, v121, 2.0, -v104
	;; [unrolled: 1-line block ×3, first 2 shown]
	v_add_f16_e32 v19, v106, v19
	v_fma_f16 v99, v99, 2.0, -v17
	v_fma_f16 v118, v139, 2.0, -v107
	v_sub_f16_e32 v107, v17, v107
	v_fma_f16 v119, v122, 2.0, -v106
	v_fma_f16 v100, v100, 2.0, -v18
	;; [unrolled: 1-line block ×13, first 2 shown]
	v_sub_f16_e32 v109, v18, v109
	v_add_f16_e32 v20, v108, v20
	v_fma_f16 v7, v7, 2.0, -v103
	v_fma_f16 v35, v35, 2.0, -v13
	v_pack_b32_f16 v13, v103, v13
	v_fma_f16 v8, v8, 2.0, -v105
	v_fma_f16 v103, v104, 2.0, -v14
	v_pack_b32_f16 v14, v105, v14
	v_sub_f16_e32 v5, v97, v5
	v_sub_f16_e32 v105, v115, v114
	;; [unrolled: 1-line block ×3, first 2 shown]
	v_add_f16_e32 v33, v110, v33
	v_fma_f16 v104, v106, 2.0, -v19
	v_sub_f16_e32 v6, v98, v6
	v_sub_f16_e32 v106, v116, v117
	;; [unrolled: 1-line block ×3, first 2 shown]
	v_add_f16_e32 v34, v112, v34
	v_fma_f16 v17, v17, 2.0, -v107
	v_pack_b32_f16 v19, v107, v19
	v_sub_f16_e32 v15, v99, v15
	v_sub_f16_e32 v107, v119, v118
	;; [unrolled: 1-line block ×8, first 2 shown]
	v_fma_f16 v18, v18, 2.0, -v109
	v_fma_f16 v108, v108, 2.0, -v20
	v_pack_b32_f16 v20, v109, v20
	v_fma_f16 v97, v97, 2.0, -v5
	v_fma_f16 v109, v115, 2.0, -v105
	;; [unrolled: 1-line block ×4, first 2 shown]
	v_pack_b32_f16 v33, v111, v33
	v_fma_f16 v98, v98, 2.0, -v6
	v_fma_f16 v111, v116, 2.0, -v106
	v_pack_b32_f16 v5, v5, v105
	v_fma_f16 v32, v32, 2.0, -v113
	v_fma_f16 v112, v112, 2.0, -v34
	;; [unrolled: 3-line block ×4, first 2 shown]
	v_fma_f16 v101, v101, 2.0, -v29
	v_fma_f16 v116, v122, 2.0, -v117
	v_fma_f16 v102, v102, 2.0, -v30
	v_fma_f16 v119, v124, 2.0, -v118
	v_pack_b32_f16 v15, v15, v107
	v_pack_b32_f16 v16, v16, v114
	;; [unrolled: 1-line block ×7, first 2 shown]
	ds_write2st64_b32 v88, v5, v13 offset0:2 offset1:3
	v_pack_b32_f16 v5, v98, v111
	v_pack_b32_f16 v17, v17, v104
	ds_write2st64_b32 v94, v6, v14 offset0:2 offset1:3
	v_pack_b32_f16 v6, v99, v113
	v_pack_b32_f16 v18, v18, v108
	;; [unrolled: 1-line block ×5, first 2 shown]
	ds_write2st64_b32 v93, v15, v19 offset0:2 offset1:3
	ds_write2st64_b32 v92, v16, v20 offset0:2 offset1:3
	v_pack_b32_f16 v14, v101, v116
	ds_write2st64_b32 v91, v29, v33 offset0:2 offset1:3
	v_pack_b32_f16 v15, v102, v119
	ds_write2st64_b32 v89, v30, v34 offset0:2 offset1:3
	ds_write2st64_b32 v88, v35, v7 offset1:1
	ds_write2st64_b32 v94, v5, v8 offset1:1
	;; [unrolled: 1-line block ×6, first 2 shown]
	s_waitcnt lgkmcnt(0)
	s_barrier
	buffer_gl0_inv
	s_clause 0x1
	global_load_dwordx4 v[5:8], v[27:28], off offset:992
	global_load_dword v97, v[27:28], off offset:1008
	v_lshrrev_b32_e32 v13, 8, v0
	v_lshlrev_b32_e32 v101, 2, v10
	v_lshlrev_b32_e32 v99, 2, v11
	;; [unrolled: 1-line block ×3, first 2 shown]
	v_mad_u64_u32 v[17:18], null, v0, 28, s[2:3]
	v_mul_u32_u24_e32 v13, 0x600, v13
	s_mov_b32 s2, 0x55555555
	s_mov_b32 s3, 0x3f155555
	v_or_b32_e32 v13, v13, v12
	v_add_co_u32 v27, vcc_lo, 0x1000, v17
	v_add_co_ci_u32_e32 v28, vcc_lo, 0, v18, vcc_lo
	v_lshlrev_b32_e32 v100, 2, v13
	ds_read2st64_b32 v[9:10], v44 offset0:32 offset1:40
	ds_read2st64_b32 v[11:12], v44 offset0:64 offset1:72
	;; [unrolled: 1-line block ×10, first 2 shown]
	ds_read2st64_b32 v[108:109], v44 offset1:8
	ds_read2st64_b32 v[110:111], v44 offset0:16 offset1:24
	v_add_co_u32 v33, vcc_lo, 0x4800, v17
	v_add_co_ci_u32_e32 v34, vcc_lo, 0, v18, vcc_lo
	s_waitcnt vmcnt(0) lgkmcnt(0)
	s_barrier
	buffer_gl0_inv
	v_lshrrev_b32_e32 v121, 16, v29
	v_lshrrev_b32_e32 v35, 16, v9
	;; [unrolled: 1-line block ×24, first 2 shown]
	v_mul_f16_sdwa v135, v35, v5 dst_sel:DWORD dst_unused:UNUSED_PAD src0_sel:DWORD src1_sel:WORD_1
	v_mul_f16_sdwa v136, v9, v5 dst_sel:DWORD dst_unused:UNUSED_PAD src0_sel:DWORD src1_sel:WORD_1
	;; [unrolled: 1-line block ×40, first 2 shown]
	v_fma_f16 v9, v9, v5, -v135
	v_fma_f16 v10, v10, v5, -v145
	;; [unrolled: 1-line block ×16, first 2 shown]
	v_fmac_f16_e32 v136, v35, v5
	v_fmac_f16_e32 v138, v112, v6
	;; [unrolled: 1-line block ×19, first 2 shown]
	v_fma_f16 v104, v104, v8, -v167
	v_fma_f16 v105, v105, v8, -v168
	;; [unrolled: 1-line block ×4, first 2 shown]
	v_fmac_f16_e32 v172, v128, v8
	v_add_f16_e32 v35, v12, v16
	v_add_f16_e32 v112, v109, v12
	;; [unrolled: 1-line block ×10, first 2 shown]
	v_sub_f16_e32 v123, v138, v142
	v_add_f16_e32 v124, v9, v13
	v_add_f16_e32 v125, v13, v19
	;; [unrolled: 1-line block ×4, first 2 shown]
	v_sub_f16_e32 v128, v140, v144
	v_add_f16_e32 v129, v131, v148
	v_add_f16_e32 v130, v148, v152
	;; [unrolled: 1-line block ×5, first 2 shown]
	v_sub_f16_e32 v140, v161, v169
	v_add_f16_e32 v141, v29, v102
	v_add_f16_e32 v145, v157, v165
	v_add_f16_e32 v147, v165, v173
	v_add_f16_e32 v149, v111, v32
	v_add_f16_e32 v151, v134, v162
	v_add_f16_e32 v156, v30, v103
	v_add_f16_e32 v160, v159, v166
	v_add_f16_e32 v161, v166, v174
	v_sub_f16_e32 v117, v148, v152
	v_sub_f16_e32 v118, v150, v154
	v_sub_f16_e32 v14, v14, v20
	v_sub_f16_e32 v11, v11, v15
	v_sub_f16_e32 v13, v13, v19
	v_sub_f16_e32 v12, v12, v16
	v_add_f16_e32 v137, v31, v104
	v_sub_f16_e32 v31, v31, v104
	v_add_f16_e32 v143, v102, v106
	v_sub_f16_e32 v102, v102, v106
	;; [unrolled: 2-line block ×3, first 2 shown]
	v_add_f16_e32 v153, v162, v172
	v_add_f16_e32 v158, v103, v107
	v_sub_f16_e32 v103, v103, v107
	v_fmac_f16_e32 v109, -0.5, v35
	v_fmac_f16_e32 v10, -0.5, v113
	;; [unrolled: 1-line block ×3, first 2 shown]
	v_add_f16_e32 v15, v120, v15
	v_add_f16_e32 v35, v121, v142
	v_fmac_f16_e32 v132, -0.5, v122
	v_add_f16_e32 v19, v124, v19
	v_fmac_f16_e32 v9, -0.5, v125
	;; [unrolled: 2-line block ×3, first 2 shown]
	v_add_f16_e32 v16, v112, v16
	v_add_f16_e32 v112, v129, v152
	v_fmac_f16_e32 v131, -0.5, v130
	v_add_f16_e32 v20, v114, v20
	v_add_f16_e32 v114, v116, v154
	;; [unrolled: 1-line block ×5, first 2 shown]
	v_fma_f16 v108, -0.5, v119, v108
	v_add_f16_e32 v116, v145, v173
	v_fmac_f16_e32 v157, -0.5, v147
	v_add_f16_e32 v105, v149, v105
	v_add_f16_e32 v119, v151, v172
	;; [unrolled: 1-line block ×4, first 2 shown]
	v_fmac_f16_e32 v159, -0.5, v161
	v_sub_f16_e32 v148, v165, v173
	v_sub_f16_e32 v155, v162, v172
	v_sub_f16_e32 v162, v166, v174
	v_fmac_f16_e32 v133, -0.5, v139
	v_fmac_f16_e32 v29, -0.5, v143
	;; [unrolled: 1-line block ×4, first 2 shown]
	v_fmamk_f16 v121, v117, 0x3aee, v109
	v_fmac_f16_e32 v109, 0xbaee, v117
	v_fmamk_f16 v117, v118, 0x3aee, v10
	v_fmac_f16_e32 v10, 0xbaee, v118
	v_fmamk_f16 v118, v14, 0xbaee, v146
	v_fmac_f16_e32 v146, 0x3aee, v14
	v_fmamk_f16 v14, v123, 0x3aee, v108
	v_fmac_f16_e32 v108, 0xbaee, v123
	v_fmamk_f16 v122, v11, 0xbaee, v132
	v_fmac_f16_e32 v132, 0x3aee, v11
	v_fmamk_f16 v11, v128, 0x3aee, v9
	v_fmamk_f16 v123, v13, 0xbaee, v136
	v_fmac_f16_e32 v136, 0x3aee, v13
	v_add_f16_e32 v13, v15, v19
	v_sub_f16_e32 v15, v15, v19
	v_add_f16_e32 v19, v35, v113
	v_sub_f16_e32 v35, v35, v113
	v_fmamk_f16 v113, v12, 0xbaee, v131
	v_fmac_f16_e32 v131, 0x3aee, v12
	v_add_f16_e32 v12, v16, v20
	v_sub_f16_e32 v16, v16, v20
	v_add_f16_e32 v20, v112, v114
	v_fmamk_f16 v125, v102, 0xbaee, v157
	v_fmac_f16_e32 v157, 0x3aee, v102
	v_add_f16_e32 v102, v104, v106
	v_sub_f16_e32 v104, v104, v106
	v_add_f16_e32 v106, v115, v116
	v_sub_f16_e32 v115, v115, v116
	v_fmamk_f16 v127, v103, 0xbaee, v159
	v_fmac_f16_e32 v159, 0x3aee, v103
	v_add_f16_e32 v103, v105, v107
	v_sub_f16_e32 v105, v105, v107
	v_add_f16_e32 v107, v119, v120
	v_fmac_f16_e32 v9, 0xbaee, v128
	v_sub_f16_e32 v119, v119, v120
	v_sub_f16_e32 v112, v112, v114
	v_fmamk_f16 v124, v31, 0xbaee, v133
	v_fmac_f16_e32 v133, 0x3aee, v31
	v_fmamk_f16 v31, v148, 0x3aee, v29
	v_fmac_f16_e32 v29, 0xbaee, v148
	;; [unrolled: 2-line block ×4, first 2 shown]
	v_pack_b32_f16 v15, v15, v35
	v_pack_b32_f16 v12, v12, v20
	;; [unrolled: 1-line block ×4, first 2 shown]
	v_mul_f16_e32 v103, 0x3aee, v123
	v_mul_f16_e32 v104, 0xbaee, v11
	v_pack_b32_f16 v13, v13, v19
	v_pack_b32_f16 v19, v102, v106
	;; [unrolled: 1-line block ×3, first 2 shown]
	v_mul_f16_e32 v105, -0.5, v9
	v_mul_f16_e32 v106, -0.5, v136
	v_pack_b32_f16 v16, v16, v112
	v_mul_f16_e32 v107, 0x3aee, v118
	v_mul_f16_e32 v112, 0xbaee, v117
	v_mul_f16_e32 v120, -0.5, v10
	v_mul_f16_e32 v115, -0.5, v146
	v_fmac_f16_e32 v111, -0.5, v150
	v_fma_f16 v110, -0.5, v137, v110
	v_mul_f16_e32 v119, 0x3aee, v125
	v_mul_f16_e32 v128, 0xbaee, v31
	v_mul_f16_e32 v129, -0.5, v29
	v_mul_f16_e32 v130, -0.5, v157
	v_mul_f16_e32 v135, 0x3aee, v127
	v_mul_f16_e32 v137, 0xbaee, v32
	v_mul_f16_e32 v138, -0.5, v30
	v_mul_f16_e32 v139, -0.5, v159
	v_fmac_f16_e32 v103, 0.5, v11
	v_fmac_f16_e32 v104, 0.5, v123
	v_fmac_f16_e32 v105, 0x3aee, v136
	v_fmac_f16_e32 v106, 0xbaee, v9
	v_fmac_f16_e32 v107, 0.5, v117
	v_fmac_f16_e32 v112, 0.5, v118
	v_fmac_f16_e32 v120, 0x3aee, v146
	v_fmac_f16_e32 v115, 0xbaee, v10
	v_fmamk_f16 v114, v140, 0x3aee, v110
	v_fmac_f16_e32 v110, 0xbaee, v140
	v_fmamk_f16 v116, v155, 0x3aee, v111
	v_fmac_f16_e32 v111, 0xbaee, v155
	v_fmac_f16_e32 v119, 0.5, v31
	v_fmac_f16_e32 v128, 0.5, v125
	v_fmac_f16_e32 v129, 0x3aee, v157
	v_fmac_f16_e32 v130, 0xbaee, v29
	v_fmac_f16_e32 v135, 0.5, v32
	v_fmac_f16_e32 v137, 0.5, v127
	v_fmac_f16_e32 v138, 0x3aee, v159
	v_fmac_f16_e32 v139, 0xbaee, v30
	v_add_f16_e32 v11, v14, v103
	v_add_f16_e32 v31, v122, v104
	v_sub_f16_e32 v14, v14, v103
	v_add_f16_e32 v29, v108, v105
	v_add_f16_e32 v103, v132, v106
	v_sub_f16_e32 v30, v108, v105
	v_sub_f16_e32 v32, v122, v104
	;; [unrolled: 1-line block ×3, first 2 shown]
	v_add_f16_e32 v105, v121, v107
	v_sub_f16_e32 v106, v121, v107
	v_add_f16_e32 v107, v113, v112
	v_add_f16_e32 v9, v109, v120
	v_sub_f16_e32 v10, v109, v120
	v_sub_f16_e32 v108, v113, v112
	v_add_f16_e32 v109, v131, v115
	v_sub_f16_e32 v112, v131, v115
	v_add_f16_e32 v113, v114, v119
	;; [unrolled: 2-line block ×7, first 2 shown]
	v_add_f16_e32 v123, v126, v137
	v_sub_f16_e32 v116, v116, v135
	v_add_f16_e32 v124, v134, v139
	v_sub_f16_e32 v125, v126, v137
	v_sub_f16_e32 v126, v134, v139
	v_pack_b32_f16 v11, v11, v31
	v_pack_b32_f16 v29, v29, v103
	;; [unrolled: 1-line block ×16, first 2 shown]
	ds_write2st64_b32 v100, v13, v11 offset1:4
	ds_write2st64_b32 v100, v29, v15 offset0:8 offset1:12
	ds_write2st64_b32 v100, v14, v30 offset0:16 offset1:20
	ds_write2st64_b32 v101, v12, v31 offset1:4
	ds_write2st64_b32 v101, v9, v16 offset0:8 offset1:12
	ds_write2st64_b32 v101, v32, v10 offset0:16 offset1:20
	;; [unrolled: 3-line block ×4, first 2 shown]
	s_waitcnt lgkmcnt(0)
	s_barrier
	buffer_gl0_inv
	s_clause 0x3
	global_load_dwordx4 v[13:16], v[27:28], off offset:2016
	global_load_dwordx4 v[9:12], v[33:34], off offset:2016
	global_load_dwordx3 v[30:32], v[27:28], off offset:2032
	global_load_dwordx3 v[27:29], v[33:34], off offset:2032
	v_add_co_u32 v33, vcc_lo, 0x8000, v17
	v_add_co_ci_u32_e32 v34, vcc_lo, 0, v18, vcc_lo
	s_clause 0x1
	global_load_dwordx4 v[17:20], v[33:34], off offset:2016
	global_load_dwordx3 v[33:35], v[33:34], off offset:2032
	ds_read2st64_b32 v[102:103], v44 offset0:48 offset1:56
	ds_read2st64_b32 v[104:105], v44 offset0:96 offset1:104
	;; [unrolled: 1-line block ×10, first 2 shown]
	ds_read2st64_b32 v[122:123], v44 offset1:8
	ds_read2st64_b32 v[124:125], v44 offset0:16 offset1:24
	s_waitcnt lgkmcnt(11)
	v_lshrrev_b32_e32 v126, 16, v102
	s_waitcnt lgkmcnt(10)
	v_lshrrev_b32_e32 v127, 16, v104
	;; [unrolled: 2-line block ×3, first 2 shown]
	v_lshrrev_b32_e32 v129, 16, v103
	v_lshrrev_b32_e32 v130, 16, v105
	;; [unrolled: 1-line block ×3, first 2 shown]
	s_waitcnt lgkmcnt(8)
	v_lshrrev_b32_e32 v132, 16, v109
	s_waitcnt lgkmcnt(7)
	v_lshrrev_b32_e32 v133, 16, v111
	;; [unrolled: 2-line block ×5, first 2 shown]
	v_lshrrev_b32_e32 v137, 16, v113
	v_lshrrev_b32_e32 v138, 16, v108
	;; [unrolled: 1-line block ×5, first 2 shown]
	s_waitcnt lgkmcnt(3)
	v_lshrrev_b32_e32 v142, 16, v119
	v_lshrrev_b32_e32 v143, 16, v118
	s_waitcnt lgkmcnt(2)
	v_lshrrev_b32_e32 v144, 16, v120
	v_lshrrev_b32_e32 v145, 16, v121
	;; [unrolled: 3-line block ×3, first 2 shown]
	v_lshrrev_b32_e32 v147, 16, v123
	v_lshrrev_b32_e32 v149, 16, v124
	s_waitcnt vmcnt(5)
	v_mul_f16_sdwa v150, v126, v14 dst_sel:DWORD dst_unused:UNUSED_PAD src0_sel:DWORD src1_sel:WORD_1
	v_mul_f16_sdwa v152, v127, v16 dst_sel:DWORD dst_unused:UNUSED_PAD src0_sel:DWORD src1_sel:WORD_1
	s_waitcnt vmcnt(4)
	v_mul_f16_sdwa v154, v129, v10 dst_sel:DWORD dst_unused:UNUSED_PAD src0_sel:DWORD src1_sel:WORD_1
	s_waitcnt vmcnt(3)
	v_mul_f16_sdwa v155, v128, v31 dst_sel:DWORD dst_unused:UNUSED_PAD src0_sel:DWORD src1_sel:WORD_1
	v_mul_f16_sdwa v157, v130, v12 dst_sel:DWORD dst_unused:UNUSED_PAD src0_sel:DWORD src1_sel:WORD_1
	;; [unrolled: 1-line block ×6, first 2 shown]
	s_waitcnt vmcnt(2)
	v_mul_f16_sdwa v159, v131, v28 dst_sel:DWORD dst_unused:UNUSED_PAD src0_sel:DWORD src1_sel:WORD_1
	v_mul_f16_sdwa v160, v105, v12 dst_sel:DWORD dst_unused:UNUSED_PAD src0_sel:DWORD src1_sel:WORD_1
	;; [unrolled: 1-line block ×9, first 2 shown]
	s_waitcnt vmcnt(1)
	v_mul_f16_sdwa v168, v137, v17 dst_sel:DWORD dst_unused:UNUSED_PAD src0_sel:DWORD src1_sel:WORD_1
	v_mul_f16_sdwa v169, v135, v11 dst_sel:DWORD dst_unused:UNUSED_PAD src0_sel:DWORD src1_sel:WORD_1
	;; [unrolled: 1-line block ×11, first 2 shown]
	s_waitcnt vmcnt(0)
	v_mul_f16_sdwa v179, v141, v33 dst_sel:DWORD dst_unused:UNUSED_PAD src0_sel:DWORD src1_sel:WORD_1
	v_mul_f16_sdwa v180, v116, v27 dst_sel:DWORD dst_unused:UNUSED_PAD src0_sel:DWORD src1_sel:WORD_1
	;; [unrolled: 1-line block ×8, first 2 shown]
	v_fma_f16 v102, v102, v14, -v150
	v_fma_f16 v103, v103, v10, -v154
	v_mul_f16_sdwa v150, v145, v35 dst_sel:DWORD dst_unused:UNUSED_PAD src0_sel:DWORD src1_sel:WORD_1
	v_mul_f16_sdwa v154, v120, v29 dst_sel:DWORD dst_unused:UNUSED_PAD src0_sel:DWORD src1_sel:WORD_1
	v_fma_f16 v104, v104, v16, -v152
	v_fma_f16 v105, v105, v12, -v157
	v_mul_f16_sdwa v152, v121, v35 dst_sel:DWORD dst_unused:UNUSED_PAD src0_sel:DWORD src1_sel:WORD_1
	v_mul_f16_sdwa v157, v125, v13 dst_sel:DWORD dst_unused:UNUSED_PAD src0_sel:DWORD src1_sel:WORD_1
	v_fma_f16 v106, v106, v31, -v155
	v_mul_f16_sdwa v155, v148, v13 dst_sel:DWORD dst_unused:UNUSED_PAD src0_sel:DWORD src1_sel:WORD_1
	v_fma_f16 v107, v107, v28, -v159
	v_fma_f16 v112, v112, v9, -v166
	;; [unrolled: 1-line block ×15, first 2 shown]
	v_fmac_f16_e32 v151, v126, v14
	v_fmac_f16_e32 v153, v127, v16
	;; [unrolled: 1-line block ×21, first 2 shown]
	v_fma_f16 v125, v125, v13, -v155
	v_sub_f16_e32 v104, v122, v104
	v_sub_f16_e32 v105, v123, v105
	;; [unrolled: 1-line block ×24, first 2 shown]
	v_fma_f16 v122, v122, 2.0, -v104
	v_fma_f16 v123, v123, 2.0, -v105
	;; [unrolled: 1-line block ×5, first 2 shown]
	v_sub_f16_e32 v127, v104, v127
	v_add_f16_e32 v119, v129, v119
	v_sub_f16_e32 v128, v111, v128
	v_fma_f16 v102, v102, 2.0, -v106
	v_fma_f16 v140, v157, 2.0, -v129
	v_add_f16_e32 v106, v126, v106
	v_fma_f16 v125, v125, 2.0, -v111
	v_fma_f16 v141, v158, 2.0, -v131
	;; [unrolled: 1-line block ×4, first 2 shown]
	v_sub_f16_e32 v131, v105, v131
	v_add_f16_e32 v120, v133, v120
	v_sub_f16_e32 v132, v116, v132
	v_fma_f16 v103, v103, 2.0, -v107
	v_fma_f16 v143, v165, 2.0, -v133
	v_add_f16_e32 v107, v130, v107
	v_fma_f16 v112, v112, 2.0, -v116
	v_fma_f16 v144, v173, 2.0, -v135
	;; [unrolled: 1-line block ×4, first 2 shown]
	v_sub_f16_e32 v135, v110, v135
	v_add_f16_e32 v121, v137, v121
	v_sub_f16_e32 v136, v117, v136
	v_fma_f16 v108, v108, 2.0, -v118
	v_add_f16_e32 v118, v134, v118
	v_fma_f16 v146, v146, 2.0, -v126
	v_fma_f16 v147, v147, 2.0, -v130
	;; [unrolled: 1-line block ×7, first 2 shown]
	v_fmamk_f16 v150, v128, 0x39a8, v127
	v_fmamk_f16 v151, v119, 0x39a8, v106
	v_fma_f16 v111, v111, 2.0, -v128
	v_fma_f16 v133, v133, 2.0, -v120
	v_fmamk_f16 v152, v132, 0x39a8, v131
	v_fmamk_f16 v153, v120, 0x39a8, v107
	v_fma_f16 v116, v116, 2.0, -v132
	v_fmamk_f16 v154, v136, 0x39a8, v135
	v_fmamk_f16 v155, v121, 0x39a8, v118
	v_fma_f16 v117, v117, 2.0, -v136
	v_fma_f16 v104, v104, 2.0, -v127
	v_fma_f16 v126, v126, 2.0, -v106
	v_sub_f16_e32 v139, v140, v139
	v_sub_f16_e32 v102, v122, v102
	v_sub_f16_e32 v109, v125, v109
	v_sub_f16_e32 v138, v146, v138
	v_fma_f16 v105, v105, 2.0, -v131
	v_fma_f16 v130, v130, 2.0, -v107
	v_sub_f16_e32 v103, v123, v103
	v_sub_f16_e32 v141, v147, v141
	;; [unrolled: 1-line block ×4, first 2 shown]
	v_fma_f16 v110, v110, 2.0, -v135
	v_fma_f16 v137, v137, 2.0, -v121
	v_sub_f16_e32 v108, v124, v108
	v_sub_f16_e32 v144, v149, v144
	;; [unrolled: 1-line block ×4, first 2 shown]
	v_fma_f16 v134, v134, 2.0, -v118
	v_fmac_f16_e32 v150, 0xb9a8, v119
	v_fmac_f16_e32 v151, 0x39a8, v128
	;; [unrolled: 1-line block ×6, first 2 shown]
	v_fmamk_f16 v119, v111, 0xb9a8, v104
	v_fmamk_f16 v120, v129, 0xb9a8, v126
	v_fma_f16 v121, v140, 2.0, -v139
	v_sub_f16_e32 v128, v102, v139
	v_fma_f16 v125, v125, 2.0, -v109
	v_add_f16_e32 v109, v138, v109
	v_fma_f16 v122, v122, 2.0, -v102
	v_fma_f16 v132, v146, 2.0, -v138
	v_fmamk_f16 v136, v116, 0xb9a8, v105
	v_fmamk_f16 v139, v133, 0xb9a8, v130
	v_fma_f16 v140, v143, 2.0, -v142
	v_sub_f16_e32 v142, v103, v142
	v_fma_f16 v112, v112, 2.0, -v114
	v_add_f16_e32 v114, v141, v114
	v_fma_f16 v123, v123, 2.0, -v103
	v_fma_f16 v146, v147, 2.0, -v141
	v_fmamk_f16 v147, v117, 0xb9a8, v110
	v_fma_f16 v143, v148, 2.0, -v145
	v_sub_f16_e32 v145, v108, v145
	v_fma_f16 v113, v113, 2.0, -v115
	v_add_f16_e32 v115, v144, v115
	v_fmamk_f16 v148, v137, 0xb9a8, v134
	v_fma_f16 v124, v124, 2.0, -v108
	v_fma_f16 v149, v149, 2.0, -v144
	v_fmac_f16_e32 v119, 0xb9a8, v129
	v_fmac_f16_e32 v120, 0x39a8, v111
	v_fma_f16 v102, v102, 2.0, -v128
	v_pack_b32_f16 v111, v128, v109
	v_fma_f16 v109, v138, 2.0, -v109
	v_fmac_f16_e32 v136, 0xb9a8, v133
	v_fmac_f16_e32 v139, 0x39a8, v116
	v_fma_f16 v103, v103, 2.0, -v142
	v_pack_b32_f16 v116, v142, v114
	v_fma_f16 v114, v141, 2.0, -v114
	v_fmac_f16_e32 v147, 0xb9a8, v137
	v_sub_f16_e32 v125, v122, v125
	v_sub_f16_e32 v121, v132, v121
	;; [unrolled: 1-line block ×4, first 2 shown]
	v_fma_f16 v127, v127, 2.0, -v150
	v_pack_b32_f16 v128, v150, v151
	v_fma_f16 v106, v106, 2.0, -v151
	v_pack_b32_f16 v133, v145, v115
	v_fmac_f16_e32 v148, 0x39a8, v117
	v_fma_f16 v108, v108, 2.0, -v145
	v_fma_f16 v115, v144, 2.0, -v115
	;; [unrolled: 1-line block ×4, first 2 shown]
	v_sub_f16_e32 v113, v124, v113
	v_sub_f16_e32 v138, v149, v143
	v_fma_f16 v129, v131, 2.0, -v152
	v_pack_b32_f16 v131, v152, v153
	v_fma_f16 v107, v107, 2.0, -v153
	v_pack_b32_f16 v117, v154, v155
	ds_write2st64_b32 v44, v111, v116 offset0:144 offset1:152
	ds_write2st64_b32 v44, v133, v128 offset0:160 offset1:168
	;; [unrolled: 1-line block ×3, first 2 shown]
	v_pack_b32_f16 v102, v102, v109
	v_fma_f16 v109, v122, 2.0, -v125
	v_fma_f16 v111, v132, 2.0, -v121
	v_pack_b32_f16 v116, v125, v121
	v_fma_f16 v104, v104, 2.0, -v119
	v_fma_f16 v117, v126, 2.0, -v120
	v_pack_b32_f16 v119, v119, v120
	v_pack_b32_f16 v103, v103, v114
	v_fma_f16 v114, v123, 2.0, -v112
	v_fma_f16 v120, v146, 2.0, -v137
	v_fma_f16 v105, v105, 2.0, -v136
	v_fma_f16 v121, v130, 2.0, -v139
	v_pack_b32_f16 v106, v127, v106
	v_pack_b32_f16 v108, v108, v115
	;; [unrolled: 1-line block ×3, first 2 shown]
	v_fma_f16 v118, v124, 2.0, -v113
	v_fma_f16 v123, v149, 2.0, -v138
	;; [unrolled: 1-line block ×4, first 2 shown]
	v_pack_b32_f16 v107, v129, v107
	v_pack_b32_f16 v112, v112, v137
	;; [unrolled: 1-line block ×9, first 2 shown]
	ds_write2st64_b32 v44, v102, v103 offset0:48 offset1:56
	ds_write2st64_b32 v44, v116, v112 offset0:96 offset1:104
	v_pack_b32_f16 v102, v118, v123
	v_pack_b32_f16 v103, v110, v124
	ds_write2st64_b32 v44, v108, v106 offset0:64 offset1:72
	ds_write2st64_b32 v44, v107, v115 offset0:80 offset1:88
	;; [unrolled: 1-line block ×4, first 2 shown]
	ds_write2st64_b32 v44, v109, v111 offset1:8
	ds_write2st64_b32 v44, v102, v104 offset0:16 offset1:24
	ds_write2st64_b32 v44, v105, v103 offset0:32 offset1:40
	s_waitcnt lgkmcnt(0)
	s_barrier
	buffer_gl0_inv
	s_clause 0x17
	global_load_dword v104, v44, s[6:7]
	global_load_dword v105, v79, s[6:7]
	;; [unrolled: 1-line block ×24, first 2 shown]
	ds_read2st64_b32 v[68:69], v44 offset1:8
	ds_read2st64_b32 v[70:71], v44 offset0:48 offset1:56
	ds_read2st64_b32 v[72:73], v44 offset0:96 offset1:104
	ds_read2st64_b32 v[74:75], v44 offset0:144 offset1:152
	ds_read2st64_b32 v[76:77], v44 offset0:16 offset1:24
	ds_read2st64_b32 v[78:79], v44 offset0:32 offset1:40
	ds_read2st64_b32 v[80:81], v44 offset0:64 offset1:72
	ds_read2st64_b32 v[82:83], v44 offset0:80 offset1:88
	ds_read2st64_b32 v[84:85], v44 offset0:112 offset1:120
	ds_read2st64_b32 v[86:87], v44 offset0:128 offset1:136
	ds_read2st64_b32 v[95:96], v44 offset0:160 offset1:168
	ds_read2st64_b32 v[102:103], v44 offset0:176 offset1:184
	s_waitcnt lgkmcnt(11)
	v_lshrrev_b32_e32 v127, 16, v68
	v_lshrrev_b32_e32 v128, 16, v69
	s_waitcnt lgkmcnt(10)
	v_lshrrev_b32_e32 v129, 16, v70
	v_lshrrev_b32_e32 v130, 16, v71
	;; [unrolled: 3-line block ×12, first 2 shown]
	s_waitcnt vmcnt(23)
	v_mul_f16_sdwa v151, v68, v104 dst_sel:DWORD dst_unused:UNUSED_PAD src0_sel:DWORD src1_sel:WORD_1
	v_mul_f16_sdwa v152, v127, v104 dst_sel:DWORD dst_unused:UNUSED_PAD src0_sel:DWORD src1_sel:WORD_1
	s_waitcnt vmcnt(22)
	v_mul_f16_sdwa v153, v128, v105 dst_sel:DWORD dst_unused:UNUSED_PAD src0_sel:DWORD src1_sel:WORD_1
	v_mul_f16_sdwa v154, v69, v105 dst_sel:DWORD dst_unused:UNUSED_PAD src0_sel:DWORD src1_sel:WORD_1
	;; [unrolled: 3-line block ×7, first 2 shown]
	v_mul_f16_sdwa v165, v134, v110 dst_sel:DWORD dst_unused:UNUSED_PAD src0_sel:DWORD src1_sel:WORD_1
	v_mul_f16_sdwa v166, v75, v110 dst_sel:DWORD dst_unused:UNUSED_PAD src0_sel:DWORD src1_sel:WORD_1
	s_waitcnt vmcnt(12)
	v_mul_f16_sdwa v167, v77, v115 dst_sel:DWORD dst_unused:UNUSED_PAD src0_sel:DWORD src1_sel:WORD_1
	v_mul_f16_sdwa v168, v135, v115 dst_sel:DWORD dst_unused:UNUSED_PAD src0_sel:DWORD src1_sel:WORD_1
	s_waitcnt vmcnt(11)
	;; [unrolled: 3-line block ×4, first 2 shown]
	v_mul_f16_sdwa v173, v138, v121 dst_sel:DWORD dst_unused:UNUSED_PAD src0_sel:DWORD src1_sel:WORD_1
	v_mul_f16_sdwa v174, v79, v121 dst_sel:DWORD dst_unused:UNUSED_PAD src0_sel:DWORD src1_sel:WORD_1
	v_mul_f16_sdwa v175, v81, v114 dst_sel:DWORD dst_unused:UNUSED_PAD src0_sel:DWORD src1_sel:WORD_1
	v_mul_f16_sdwa v176, v139, v114 dst_sel:DWORD dst_unused:UNUSED_PAD src0_sel:DWORD src1_sel:WORD_1
	s_waitcnt vmcnt(5)
	v_mul_f16_sdwa v177, v140, v122 dst_sel:DWORD dst_unused:UNUSED_PAD src0_sel:DWORD src1_sel:WORD_1
	v_mul_f16_sdwa v178, v80, v122 dst_sel:DWORD dst_unused:UNUSED_PAD src0_sel:DWORD src1_sel:WORD_1
	v_mul_f16_sdwa v179, v82, v119 dst_sel:DWORD dst_unused:UNUSED_PAD src0_sel:DWORD src1_sel:WORD_1
	v_mul_f16_sdwa v180, v141, v119 dst_sel:DWORD dst_unused:UNUSED_PAD src0_sel:DWORD src1_sel:WORD_1
	s_waitcnt vmcnt(4)
	;; [unrolled: 5-line block ×3, first 2 shown]
	v_mul_f16_sdwa v185, v144, v124 dst_sel:DWORD dst_unused:UNUSED_PAD src0_sel:DWORD src1_sel:WORD_1
	v_mul_f16_sdwa v186, v84, v124 dst_sel:DWORD dst_unused:UNUSED_PAD src0_sel:DWORD src1_sel:WORD_1
	v_fmac_f16_e32 v151, v127, v104
	v_mul_f16_sdwa v127, v86, v118 dst_sel:DWORD dst_unused:UNUSED_PAD src0_sel:DWORD src1_sel:WORD_1
	v_fma_f16 v68, v68, v104, -v152
	v_mul_f16_sdwa v104, v145, v118 dst_sel:DWORD dst_unused:UNUSED_PAD src0_sel:DWORD src1_sel:WORD_1
	v_fma_f16 v69, v69, v105, -v153
	s_waitcnt vmcnt(2)
	v_mul_f16_sdwa v152, v146, v90 dst_sel:DWORD dst_unused:UNUSED_PAD src0_sel:DWORD src1_sel:WORD_1
	v_mul_f16_sdwa v153, v87, v90 dst_sel:DWORD dst_unused:UNUSED_PAD src0_sel:DWORD src1_sel:WORD_1
	v_fmac_f16_e32 v154, v128, v105
	v_mul_f16_sdwa v128, v147, v111 dst_sel:DWORD dst_unused:UNUSED_PAD src0_sel:DWORD src1_sel:WORD_1
	v_fmac_f16_e32 v155, v129, v106
	s_waitcnt vmcnt(1)
	v_mul_f16_sdwa v129, v148, v125 dst_sel:DWORD dst_unused:UNUSED_PAD src0_sel:DWORD src1_sel:WORD_1
	v_fma_f16 v70, v70, v106, -v156
	v_mul_f16_sdwa v106, v95, v125 dst_sel:DWORD dst_unused:UNUSED_PAD src0_sel:DWORD src1_sel:WORD_1
	v_fma_f16 v71, v71, v107, -v157
	v_mul_f16_sdwa v156, v102, v117 dst_sel:DWORD dst_unused:UNUSED_PAD src0_sel:DWORD src1_sel:WORD_1
	v_mul_f16_sdwa v157, v149, v117 dst_sel:DWORD dst_unused:UNUSED_PAD src0_sel:DWORD src1_sel:WORD_1
	v_fmac_f16_e32 v158, v130, v107
	s_waitcnt vmcnt(0)
	v_mul_f16_sdwa v107, v150, v126 dst_sel:DWORD dst_unused:UNUSED_PAD src0_sel:DWORD src1_sel:WORD_1
	v_mul_f16_sdwa v130, v103, v126 dst_sel:DWORD dst_unused:UNUSED_PAD src0_sel:DWORD src1_sel:WORD_1
	v_mul_f16_sdwa v105, v96, v111 dst_sel:DWORD dst_unused:UNUSED_PAD src0_sel:DWORD src1_sel:WORD_1
	v_fmac_f16_e32 v159, v131, v108
	v_fma_f16 v72, v72, v108, -v160
	v_fma_f16 v73, v73, v109, -v161
	v_fmac_f16_e32 v162, v132, v109
	v_fmac_f16_e32 v163, v133, v112
	v_fma_f16 v74, v74, v112, -v164
	v_fma_f16 v75, v75, v110, -v165
	v_fmac_f16_e32 v166, v134, v110
	;; [unrolled: 4-line block ×8, first 2 shown]
	v_fma_f16 v90, v96, v111, -v128
	v_fma_f16 v95, v95, v125, -v129
	v_fmac_f16_e32 v106, v148, v125
	v_fmac_f16_e32 v156, v149, v117
	v_fma_f16 v96, v102, v117, -v157
	v_fma_f16 v102, v103, v126, -v107
	v_fmac_f16_e32 v130, v150, v126
	v_fmac_f16_e32 v105, v147, v111
	v_pack_b32_f16 v68, v68, v151
	v_pack_b32_f16 v69, v69, v154
	v_pack_b32_f16 v70, v70, v155
	v_pack_b32_f16 v71, v71, v158
	v_pack_b32_f16 v72, v72, v159
	v_pack_b32_f16 v73, v73, v162
	v_pack_b32_f16 v74, v74, v163
	v_pack_b32_f16 v75, v75, v166
	v_pack_b32_f16 v77, v77, v167
	v_pack_b32_f16 v81, v81, v175
	v_pack_b32_f16 v85, v85, v183
	v_pack_b32_f16 v78, v78, v171
	v_pack_b32_f16 v82, v82, v179
	v_pack_b32_f16 v86, v86, v127
	v_pack_b32_f16 v96, v96, v156
	v_pack_b32_f16 v76, v76, v170
	v_pack_b32_f16 v79, v79, v174
	v_pack_b32_f16 v80, v80, v178
	v_pack_b32_f16 v83, v83, v182
	v_pack_b32_f16 v84, v84, v186
	v_pack_b32_f16 v87, v87, v153
	v_pack_b32_f16 v95, v95, v106
	v_pack_b32_f16 v102, v102, v130
	v_pack_b32_f16 v90, v90, v105
	ds_write2st64_b32 v44, v68, v69 offset1:8
	ds_write2st64_b32 v44, v70, v71 offset0:48 offset1:56
	ds_write2st64_b32 v44, v72, v73 offset0:96 offset1:104
	;; [unrolled: 1-line block ×11, first 2 shown]
	s_waitcnt lgkmcnt(0)
	s_barrier
	buffer_gl0_inv
	ds_read2st64_b32 v[68:69], v44 offset1:8
	ds_read2st64_b32 v[70:71], v44 offset0:48 offset1:56
	ds_read2st64_b32 v[72:73], v44 offset0:96 offset1:104
	;; [unrolled: 1-line block ×11, first 2 shown]
	s_waitcnt lgkmcnt(0)
	s_barrier
	buffer_gl0_inv
	v_lshrrev_b32_e32 v90, 16, v69
	v_lshrrev_b32_e32 v106, 16, v71
	v_pk_add_f16 v72, v68, v72 neg_lo:[0,1] neg_hi:[0,1]
	v_pk_add_f16 v74, v70, v74 neg_lo:[0,1] neg_hi:[0,1]
	v_lshrrev_b32_e32 v108, 16, v76
	v_pk_add_f16 v79, v77, v79 neg_lo:[0,1] neg_hi:[0,1]
	v_sub_f16_e32 v104, v69, v73
	v_pk_add_f16 v83, v81, v83 neg_lo:[0,1] neg_hi:[0,1]
	v_lshrrev_b32_e32 v112, 16, v85
	v_lshrrev_b32_e32 v105, 16, v84
	;; [unrolled: 1-line block ×4, first 2 shown]
	v_sub_f16_e32 v107, v71, v75
	v_lshrrev_b32_e32 v110, 16, v80
	v_sub_f16_e32 v109, v76, v78
	v_sub_f16_e32 v111, v80, v82
	;; [unrolled: 1-line block ×4, first 2 shown]
	v_pk_fma_f16 v68, v68, 2.0, v72 op_sel_hi:[1,0,1] neg_lo:[0,0,1] neg_hi:[0,0,1]
	v_pk_fma_f16 v70, v70, 2.0, v74 op_sel_hi:[1,0,1] neg_lo:[0,0,1] neg_hi:[0,0,1]
	v_pk_fma_f16 v77, v77, 2.0, v79 op_sel_hi:[1,0,1] neg_lo:[0,0,1] neg_hi:[0,0,1]
	v_lshrrev_b32_e32 v119, 16, v72
	v_lshrrev_b32_e32 v120, 16, v79
	v_pk_fma_f16 v81, v81, 2.0, v83 op_sel_hi:[1,0,1] neg_lo:[0,0,1] neg_hi:[0,0,1]
	v_add_f16_sdwa v121, v72, v74 dst_sel:DWORD dst_unused:UNUSED_PAD src0_sel:DWORD src1_sel:WORD_1
	v_add_f16_sdwa v122, v79, v83 dst_sel:DWORD dst_unused:UNUSED_PAD src0_sel:DWORD src1_sel:WORD_1
	v_sub_f16_sdwa v78, v108, v78 dst_sel:DWORD dst_unused:UNUSED_PAD src0_sel:DWORD src1_sel:WORD_1
	v_sub_f16_sdwa v87, v112, v87 dst_sel:DWORD dst_unused:UNUSED_PAD src0_sel:DWORD src1_sel:WORD_1
	;; [unrolled: 1-line block ×3, first 2 shown]
	v_sub_f16_e32 v113, v84, v86
	v_sub_f16_e32 v117, v95, v102
	v_sub_f16_sdwa v73, v90, v73 dst_sel:DWORD dst_unused:UNUSED_PAD src0_sel:DWORD src1_sel:WORD_1
	v_sub_f16_sdwa v75, v106, v75 dst_sel:DWORD dst_unused:UNUSED_PAD src0_sel:DWORD src1_sel:WORD_1
	;; [unrolled: 1-line block ×4, first 2 shown]
	v_fma_f16 v69, v69, 2.0, -v104
	v_fma_f16 v71, v71, 2.0, -v107
	v_sub_f16_sdwa v82, v110, v82 dst_sel:DWORD dst_unused:UNUSED_PAD src0_sel:DWORD src1_sel:WORD_1
	v_fma_f16 v80, v80, 2.0, -v111
	v_sub_f16_e32 v74, v119, v74
	v_sub_f16_e32 v83, v120, v83
	v_pk_add_f16 v70, v68, v70 neg_lo:[0,1] neg_hi:[0,1]
	v_pk_add_f16 v81, v77, v81 neg_lo:[0,1] neg_hi:[0,1]
	v_fma_f16 v72, v72, 2.0, -v121
	v_fma_f16 v124, v79, 2.0, -v122
	;; [unrolled: 1-line block ×4, first 2 shown]
	v_sub_f16_e32 v111, v78, v111
	v_fma_f16 v84, v84, 2.0, -v113
	v_fma_f16 v95, v95, 2.0, -v117
	v_fmamk_f16 v123, v122, 0x39a8, v121
	v_fma_f16 v79, v106, 2.0, -v75
	v_fma_f16 v106, v115, 2.0, -v102
	v_add_f16_e32 v75, v104, v75
	v_sub_f16_e32 v115, v86, v117
	v_add_f16_e32 v102, v113, v102
	v_fma_f16 v105, v105, 2.0, -v86
	v_sub_f16_e32 v107, v73, v107
	v_sub_f16_e32 v117, v87, v118
	v_fma_f16 v90, v90, 2.0, -v73
	v_fma_f16 v76, v76, 2.0, -v109
	;; [unrolled: 1-line block ×5, first 2 shown]
	v_add_f16_e32 v82, v109, v82
	v_add_f16_e32 v103, v114, v103
	v_sub_f16_e32 v118, v69, v71
	v_fma_f16 v71, v108, 2.0, -v78
	v_pk_fma_f16 v127, v68, 2.0, v70 op_sel_hi:[1,0,1] neg_lo:[0,0,1] neg_hi:[0,0,1]
	v_fma_f16 v119, v119, 2.0, -v74
	v_pk_fma_f16 v68, v77, 2.0, v81 op_sel_hi:[1,0,1] neg_lo:[0,0,1] neg_hi:[0,0,1]
	v_fma_f16 v77, v120, 2.0, -v83
	v_fma_f16 v130, v78, 2.0, -v111
	v_sub_f16_e32 v78, v112, v116
	v_fmamk_f16 v116, v124, 0xb9a8, v72
	v_sub_f16_e32 v95, v84, v95
	v_fmamk_f16 v108, v83, 0x39a8, v74
	v_fmac_f16_e32 v123, 0x39a8, v83
	v_fma_f16 v83, v86, 2.0, -v115
	v_fmamk_f16 v120, v115, 0x39a8, v107
	v_fma_f16 v113, v113, 2.0, -v102
	v_fmamk_f16 v129, v117, 0x39a8, v111
	v_fma_f16 v104, v104, 2.0, -v75
	v_fma_f16 v73, v73, 2.0, -v107
	v_sub_f16_e32 v106, v105, v106
	v_sub_f16_e32 v79, v90, v79
	;; [unrolled: 1-line block ×4, first 2 shown]
	v_lshrrev_b32_e32 v125, 16, v70
	v_fmamk_f16 v86, v102, 0x39a8, v75
	v_fma_f16 v87, v87, 2.0, -v117
	v_fmamk_f16 v128, v103, 0x39a8, v82
	v_fma_f16 v114, v114, 2.0, -v103
	v_fma_f16 v109, v109, 2.0, -v82
	v_sub_f16_e32 v110, v71, v110
	v_fmac_f16_e32 v116, 0x39a8, v77
	v_fmamk_f16 v77, v77, 0xb9a8, v119
	v_fma_f16 v84, v84, 2.0, -v95
	v_fma_f16 v69, v69, 2.0, -v118
	v_fmac_f16_e32 v120, 0xb9a8, v102
	v_fmac_f16_e32 v129, 0xb9a8, v103
	v_fmamk_f16 v102, v113, 0xb9a8, v104
	v_fmamk_f16 v103, v83, 0xb9a8, v73
	v_fma_f16 v105, v105, 2.0, -v106
	v_fma_f16 v90, v90, 2.0, -v79
	v_add_f16_sdwa v126, v70, v81 dst_sel:DWORD dst_unused:UNUSED_PAD src0_sel:DWORD src1_sel:WORD_1
	v_fma_f16 v85, v85, 2.0, -v96
	v_fma_f16 v76, v76, 2.0, -v80
	v_fmac_f16_e32 v108, 0xb9a8, v122
	v_sub_f16_e32 v81, v125, v81
	v_fmac_f16_e32 v86, 0x39a8, v115
	v_fmac_f16_e32 v128, 0x39a8, v117
	v_add_f16_e32 v106, v118, v106
	v_sub_f16_e32 v95, v79, v95
	v_fmamk_f16 v115, v114, 0xb9a8, v109
	v_fmamk_f16 v117, v87, 0xb9a8, v130
	v_fma_f16 v112, v112, 2.0, -v78
	v_add_f16_e32 v78, v80, v78
	v_sub_f16_e32 v96, v110, v96
	v_fma_f16 v131, v71, 2.0, -v110
	v_fmac_f16_e32 v77, 0xb9a8, v124
	v_sub_f16_e32 v84, v69, v84
	v_fmac_f16_e32 v102, 0x39a8, v83
	v_fmac_f16_e32 v103, 0xb9a8, v113
	v_sub_f16_e32 v105, v90, v105
	v_fma_f16 v122, v70, 2.0, -v126
	v_fma_f16 v121, v121, 2.0, -v123
	v_sub_f16_e32 v85, v76, v85
	v_fma_f16 v132, v74, 2.0, -v108
	v_fma_f16 v125, v125, 2.0, -v81
	v_pack_b32_f16 v71, v123, v108
	v_pack_b32_f16 v70, v126, v81
	v_fma_f16 v81, v118, 2.0, -v106
	v_fma_f16 v108, v79, 2.0, -v95
	v_pack_b32_f16 v74, v106, v95
	v_fmac_f16_e32 v115, 0x39a8, v87
	v_fmac_f16_e32 v117, 0xb9a8, v114
	v_fma_f16 v95, v80, 2.0, -v78
	v_fma_f16 v106, v110, 2.0, -v96
	v_pack_b32_f16 v78, v78, v96
	v_fma_f16 v96, v111, 2.0, -v129
	v_sub_f16_e32 v111, v131, v112
	v_pk_add_f16 v68, v127, v68 neg_lo:[0,1] neg_hi:[0,1]
	v_fma_f16 v113, v75, 2.0, -v86
	v_pack_b32_f16 v75, v86, v120
	v_fma_f16 v86, v107, 2.0, -v120
	v_fma_f16 v114, v72, 2.0, -v116
	;; [unrolled: 1-line block ×9, first 2 shown]
	v_pack_b32_f16 v83, v121, v132
	v_pack_b32_f16 v82, v122, v125
	v_fma_f16 v121, v131, 2.0, -v111
	v_fma_f16 v109, v109, 2.0, -v115
	;; [unrolled: 1-line block ×3, first 2 shown]
	v_pack_b32_f16 v69, v116, v77
	v_pack_b32_f16 v73, v102, v103
	v_pack_b32_f16 v72, v84, v105
	v_pack_b32_f16 v79, v128, v129
	v_pack_b32_f16 v77, v115, v117
	v_pack_b32_f16 v76, v85, v111
	v_pk_fma_f16 v80, v127, 2.0, v68 op_sel_hi:[1,0,1] neg_lo:[0,0,1] neg_hi:[0,0,1]
	v_pack_b32_f16 v87, v113, v86
	v_pack_b32_f16 v86, v81, v108
	;; [unrolled: 1-line block ×9, first 2 shown]
	ds_write_b128 v62, v[68:71] offset:16
	ds_write_b128 v67, v[72:75] offset:16
	;; [unrolled: 1-line block ×3, first 2 shown]
	ds_write_b128 v62, v[80:83]
	ds_write_b128 v62, v[84:87] offset:16384
	ds_write_b128 v62, v[102:105] offset:32768
	s_waitcnt lgkmcnt(0)
	s_barrier
	buffer_gl0_inv
	ds_read2st64_b32 v[66:67], v44 offset1:8
	ds_read2st64_b32 v[68:69], v44 offset0:16 offset1:24
	ds_read2st64_b32 v[70:71], v44 offset0:48 offset1:56
	;; [unrolled: 1-line block ×11, first 2 shown]
	s_waitcnt lgkmcnt(0)
	s_barrier
	buffer_gl0_inv
	v_lshrrev_b32_e32 v62, 16, v66
	v_lshrrev_b32_e32 v90, 16, v69
	;; [unrolled: 1-line block ×14, first 2 shown]
	v_mul_f16_sdwa v114, v2, v70 dst_sel:DWORD dst_unused:UNUSED_PAD src0_sel:WORD_1 src1_sel:DWORD
	v_mul_f16_sdwa v115, v4, v74 dst_sel:DWORD dst_unused:UNUSED_PAD src0_sel:WORD_1 src1_sel:DWORD
	v_mul_f16_sdwa v116, v1, v82 dst_sel:DWORD dst_unused:UNUSED_PAD src0_sel:WORD_1 src1_sel:DWORD
	v_mul_f16_sdwa v117, v2, v71 dst_sel:DWORD dst_unused:UNUSED_PAD src0_sel:WORD_1 src1_sel:DWORD
	v_mul_f16_sdwa v118, v4, v75 dst_sel:DWORD dst_unused:UNUSED_PAD src0_sel:WORD_1 src1_sel:DWORD
	v_mul_f16_sdwa v119, v1, v83 dst_sel:DWORD dst_unused:UNUSED_PAD src0_sel:WORD_1 src1_sel:DWORD
	v_mul_f16_sdwa v120, v3, v73 dst_sel:DWORD dst_unused:UNUSED_PAD src0_sel:WORD_1 src1_sel:DWORD
	v_mul_f16_sdwa v121, v2, v72 dst_sel:DWORD dst_unused:UNUSED_PAD src0_sel:WORD_1 src1_sel:DWORD
	v_lshrrev_b32_e32 v122, 16, v86
	v_lshrrev_b32_e32 v123, 16, v79
	;; [unrolled: 1-line block ×5, first 2 shown]
	v_mul_f16_sdwa v127, v3, v84 dst_sel:DWORD dst_unused:UNUSED_PAD src0_sel:WORD_1 src1_sel:DWORD
	v_mul_f16_sdwa v128, v1, v69 dst_sel:DWORD dst_unused:UNUSED_PAD src0_sel:WORD_1 src1_sel:DWORD
	;; [unrolled: 1-line block ×4, first 2 shown]
	v_lshrrev_b32_e32 v131, 16, v87
	v_mul_f16_sdwa v132, v21, v77 dst_sel:DWORD dst_unused:UNUSED_PAD src0_sel:WORD_1 src1_sel:DWORD
	v_mul_f16_sdwa v133, v22, v78 dst_sel:DWORD dst_unused:UNUSED_PAD src0_sel:WORD_1 src1_sel:DWORD
	;; [unrolled: 1-line block ×5, first 2 shown]
	v_lshrrev_b32_e32 v137, 16, v80
	v_mul_f16_sdwa v139, v23, v81 dst_sel:DWORD dst_unused:UNUSED_PAD src0_sel:WORD_1 src1_sel:DWORD
	v_mul_f16_sdwa v140, v23, v95 dst_sel:DWORD dst_unused:UNUSED_PAD src0_sel:WORD_1 src1_sel:DWORD
	;; [unrolled: 1-line block ×3, first 2 shown]
	v_lshrrev_b32_e32 v138, 16, v96
	v_mul_f16_sdwa v145, v2, v102 dst_sel:DWORD dst_unused:UNUSED_PAD src0_sel:WORD_1 src1_sel:DWORD
	v_mul_f16_sdwa v146, v2, v109 dst_sel:DWORD dst_unused:UNUSED_PAD src0_sel:WORD_1 src1_sel:DWORD
	;; [unrolled: 1-line block ×3, first 2 shown]
	v_fma_f16 v102, v2, v102, -v114
	v_mul_f16_sdwa v114, v4, v111 dst_sel:DWORD dst_unused:UNUSED_PAD src0_sel:WORD_1 src1_sel:DWORD
	v_fma_f16 v104, v4, v104, -v115
	v_mul_f16_sdwa v115, v1, v108 dst_sel:DWORD dst_unused:UNUSED_PAD src0_sel:WORD_1 src1_sel:DWORD
	;; [unrolled: 2-line block ×5, first 2 shown]
	v_fma_f16 v111, v4, v111, -v118
	v_fma_f16 v112, v1, v112, -v119
	;; [unrolled: 1-line block ×3, first 2 shown]
	v_mul_f16_sdwa v110, v3, v110 dst_sel:DWORD dst_unused:UNUSED_PAD src0_sel:WORD_1 src1_sel:DWORD
	v_fma_f16 v113, v2, v113, -v121
	v_mul_f16_sdwa v119, v3, v125 dst_sel:DWORD dst_unused:UNUSED_PAD src0_sel:WORD_1 src1_sel:DWORD
	v_fma_f16 v121, v3, v125, -v129
	v_fma_f16 v125, v1, v90, -v128
	v_mul_f16_sdwa v127, v4, v126 dst_sel:DWORD dst_unused:UNUSED_PAD src0_sel:WORD_1 src1_sel:DWORD
	v_fma_f16 v126, v4, v126, -v130
	v_mul_f16_sdwa v128, v21, v105 dst_sel:DWORD dst_unused:UNUSED_PAD src0_sel:WORD_1 src1_sel:DWORD
	v_mul_f16_sdwa v129, v22, v106 dst_sel:DWORD dst_unused:UNUSED_PAD src0_sel:WORD_1 src1_sel:DWORD
	;; [unrolled: 1-line block ×3, first 2 shown]
	v_fma_f16 v105, v21, v105, -v132
	v_mul_f16_sdwa v132, v21, v122 dst_sel:DWORD dst_unused:UNUSED_PAD src0_sel:WORD_1 src1_sel:DWORD
	v_fma_f16 v106, v22, v106, -v133
	v_mul_f16_sdwa v133, v21, v131 dst_sel:DWORD dst_unused:UNUSED_PAD src0_sel:WORD_1 src1_sel:DWORD
	v_fma_f16 v122, v21, v122, -v135
	v_fma_f16 v123, v22, v123, -v134
	;; [unrolled: 1-line block ×3, first 2 shown]
	v_mul_f16_sdwa v107, v23, v107 dst_sel:DWORD dst_unused:UNUSED_PAD src0_sel:WORD_1 src1_sel:DWORD
	v_fma_f16 v131, v21, v131, -v136
	v_mul_f16_sdwa v135, v22, v137 dst_sel:DWORD dst_unused:UNUSED_PAD src0_sel:WORD_1 src1_sel:DWORD
	v_fma_f16 v136, v22, v137, -v141
	v_fma_f16 v137, v23, v124, -v140
	v_mul_f16_sdwa v124, v23, v124 dst_sel:DWORD dst_unused:UNUSED_PAD src0_sel:WORD_1 src1_sel:DWORD
	v_mul_f16_sdwa v90, v1, v90 dst_sel:DWORD dst_unused:UNUSED_PAD src0_sel:WORD_1 src1_sel:DWORD
	;; [unrolled: 1-line block ×3, first 2 shown]
	v_lshrrev_b32_e32 v143, 16, v67
	v_mul_f16_sdwa v139, v23, v138 dst_sel:DWORD dst_unused:UNUSED_PAD src0_sel:WORD_1 src1_sel:DWORD
	v_fmac_f16_e32 v145, v2, v70
	v_fmac_f16_e32 v146, v2, v71
	;; [unrolled: 1-line block ×14, first 2 shown]
	v_lshrrev_b32_e32 v144, 16, v68
	v_fma_f16 v138, v23, v138, -v142
	v_fmac_f16_e32 v116, v1, v83
	v_fmac_f16_e32 v117, v2, v72
	;; [unrolled: 1-line block ×6, first 2 shown]
	v_sub_f16_e32 v1, v62, v104
	v_sub_f16_e32 v3, v125, v105
	;; [unrolled: 1-line block ×14, first 2 shown]
	v_fmac_f16_e32 v127, v4, v76
	v_sub_f16_e32 v2, v102, v106
	v_sub_f16_e32 v4, v120, v134
	;; [unrolled: 1-line block ×6, first 2 shown]
	v_fma_f16 v82, v143, 2.0, -v21
	v_fma_f16 v84, v109, 2.0, -v22
	;; [unrolled: 1-line block ×8, first 2 shown]
	v_sub_f16_e32 v75, v1, v75
	v_sub_f16_e32 v79, v3, v79
	v_fma_f16 v67, v67, 2.0, -v81
	v_fma_f16 v112, v146, 2.0, -v83
	v_fma_f16 v113, v115, 2.0, -v85
	v_fma_f16 v110, v110, 2.0, -v87
	v_sub_f16_e32 v83, v21, v83
	v_sub_f16_e32 v87, v23, v87
	v_fma_f16 v62, v62, 2.0, -v1
	v_fma_f16 v76, v102, 2.0, -v2
	v_fma_f16 v78, v125, 2.0, -v3
	v_fma_f16 v80, v120, 2.0, -v4
	v_fma_f16 v66, v66, 2.0, -v74
	v_fma_f16 v90, v90, 2.0, -v77
	v_add_f16_e32 v2, v74, v2
	v_add_f16_e32 v4, v77, v4
	v_sub_f16_e32 v96, v68, v127
	v_fma_f16 v102, v144, 2.0, -v70
	v_sub_f16_e32 v104, v117, v135
	v_sub_f16_e32 v106, v116, v133
	;; [unrolled: 1-line block ×3, first 2 shown]
	v_fma_f16 v109, v121, 2.0, -v73
	v_sub_f16_e32 v84, v82, v84
	v_add_f16_e32 v22, v81, v22
	v_sub_f16_e32 v95, v86, v95
	v_add_f16_e32 v69, v85, v69
	v_fmamk_f16 v118, v79, 0x39a8, v75
	v_sub_f16_e32 v112, v67, v112
	v_fma_f16 v21, v21, 2.0, -v83
	v_sub_f16_e32 v110, v113, v110
	v_fma_f16 v23, v23, 2.0, -v87
	v_sub_f16_e32 v76, v62, v76
	v_sub_f16_e32 v80, v78, v80
	;; [unrolled: 1-line block ×3, first 2 shown]
	v_fma_f16 v74, v74, 2.0, -v2
	v_fma_f16 v1, v1, 2.0, -v75
	v_sub_f16_e32 v103, v90, v103
	v_fma_f16 v77, v77, 2.0, -v4
	v_fma_f16 v3, v3, 2.0, -v79
	;; [unrolled: 1-line block ×5, first 2 shown]
	v_sub_f16_e32 v105, v102, v105
	v_add_f16_e32 v71, v96, v71
	v_sub_f16_e32 v104, v70, v104
	v_add_f16_e32 v73, v106, v73
	v_sub_f16_e32 v109, v107, v109
	v_sub_f16_e32 v108, v72, v108
	v_fmamk_f16 v117, v4, 0x39a8, v2
	v_fma_f16 v82, v82, 2.0, -v84
	v_fma_f16 v81, v81, 2.0, -v22
	;; [unrolled: 1-line block ×4, first 2 shown]
	v_fmamk_f16 v119, v69, 0x39a8, v22
	v_fmac_f16_e32 v118, 0xb9a8, v4
	v_fma_f16 v4, v67, 2.0, -v112
	v_fma_f16 v67, v113, 2.0, -v110
	v_fmamk_f16 v113, v23, 0xb9a8, v21
	v_fma_f16 v62, v62, 2.0, -v76
	v_fma_f16 v78, v78, 2.0, -v80
	v_fmamk_f16 v120, v87, 0x39a8, v83
	;; [unrolled: 3-line block ×3, first 2 shown]
	v_fmamk_f16 v122, v3, 0xb9a8, v1
	v_fma_f16 v68, v68, 2.0, -v96
	v_fma_f16 v102, v102, 2.0, -v105
	;; [unrolled: 1-line block ×3, first 2 shown]
	v_fmac_f16_e32 v117, 0x39a8, v79
	v_sub_f16_e32 v79, v82, v86
	v_fmamk_f16 v86, v85, 0xb9a8, v81
	v_fmac_f16_e32 v119, 0x39a8, v87
	v_fmac_f16_e32 v113, 0xb9a8, v85
	v_fma_f16 v70, v70, 2.0, -v104
	v_fma_f16 v85, v106, 2.0, -v73
	;; [unrolled: 1-line block ×4, first 2 shown]
	v_sub_f16_e32 v78, v62, v78
	v_fmac_f16_e32 v120, 0xb9a8, v69
	v_sub_f16_e32 v69, v66, v90
	v_fmac_f16_e32 v121, 0x39a8, v3
	v_fmac_f16_e32 v122, 0xb9a8, v77
	v_sub_f16_e32 v114, v68, v114
	v_sub_f16_e32 v116, v115, v116
	v_add_f16_e32 v80, v111, v80
	v_sub_f16_e32 v103, v76, v103
	v_sub_f16_e32 v110, v84, v110
	v_fmamk_f16 v90, v85, 0xb9a8, v96
	v_sub_f16_e32 v87, v102, v87
	v_fmamk_f16 v106, v72, 0xb9a8, v70
	v_fma_f16 v62, v62, 2.0, -v78
	v_fma_f16 v66, v66, 2.0, -v69
	;; [unrolled: 1-line block ×12, first 2 shown]
	v_sub_f16_e32 v67, v4, v67
	v_fmac_f16_e32 v86, 0x39a8, v23
	v_fmac_f16_e32 v90, 0x39a8, v72
	v_fma_f16 v72, v102, 2.0, -v87
	v_fmac_f16_e32 v106, 0xb9a8, v85
	v_fmamk_f16 v85, v73, 0x39a8, v71
	v_fmamk_f16 v102, v108, 0x39a8, v104
	v_add_f16_e32 v95, v112, v95
	v_pack_b32_f16 v62, v66, v62
	v_pack_b32_f16 v1, v74, v1
	v_sub_f16_e32 v84, v68, v84
	v_pack_b32_f16 v3, v3, v76
	v_pack_b32_f16 v2, v2, v75
	v_fma_f16 v4, v4, 2.0, -v67
	v_fma_f16 v81, v81, 2.0, -v86
	;; [unrolled: 1-line block ×3, first 2 shown]
	v_add_f16_e32 v107, v114, v109
	v_sub_f16_e32 v109, v105, v116
	v_fmac_f16_e32 v85, 0x39a8, v108
	v_fmac_f16_e32 v102, 0xb9a8, v73
	v_fma_f16 v23, v112, 2.0, -v95
	v_fma_f16 v22, v22, 2.0, -v119
	;; [unrolled: 1-line block ×3, first 2 shown]
	ds_write2_b32 v64, v62, v1 offset1:8
	ds_write2_b32 v64, v3, v2 offset0:16 offset1:24
	v_pack_b32_f16 v1, v69, v78
	v_pack_b32_f16 v2, v121, v122
	v_fma_f16 v68, v68, 2.0, -v84
	v_fma_f16 v96, v96, 2.0, -v90
	;; [unrolled: 1-line block ×3, first 2 shown]
	v_pack_b32_f16 v3, v80, v103
	v_pack_b32_f16 v62, v117, v118
	v_fma_f16 v73, v114, 2.0, -v107
	v_fma_f16 v105, v105, 2.0, -v109
	v_fma_f16 v71, v71, 2.0, -v85
	v_fma_f16 v104, v104, 2.0, -v102
	v_pack_b32_f16 v4, v4, v77
	v_pack_b32_f16 v21, v81, v21
	;; [unrolled: 1-line block ×6, first 2 shown]
	ds_write2_b32 v64, v1, v2 offset0:32 offset1:40
	ds_write2_b32 v64, v3, v62 offset0:48 offset1:56
	ds_write2_b32 v63, v4, v21 offset1:8
	ds_write2_b32 v63, v23, v22 offset0:16 offset1:24
	ds_write2_b32 v63, v66, v67 offset0:32 offset1:40
	v_pack_b32_f16 v1, v95, v110
	v_pack_b32_f16 v2, v119, v120
	;; [unrolled: 1-line block ×10, first 2 shown]
	ds_write2_b32 v63, v1, v2 offset0:48 offset1:56
	ds_write2_b32 v65, v3, v4 offset1:8
	ds_write2_b32 v65, v21, v22 offset0:16 offset1:24
	ds_write2_b32 v65, v23, v62 offset0:32 offset1:40
	;; [unrolled: 1-line block ×3, first 2 shown]
	s_waitcnt lgkmcnt(0)
	s_barrier
	buffer_gl0_inv
	ds_read2st64_b32 v[1:2], v44 offset1:8
	ds_read2st64_b32 v[3:4], v44 offset0:48 offset1:56
	ds_read2st64_b32 v[21:22], v44 offset0:96 offset1:104
	;; [unrolled: 1-line block ×11, first 2 shown]
	s_waitcnt lgkmcnt(0)
	s_barrier
	buffer_gl0_inv
	v_lshrrev_b32_e32 v23, 16, v1
	v_lshrrev_b32_e32 v80, 16, v3
	;; [unrolled: 1-line block ×5, first 2 shown]
	v_mul_f16_sdwa v112, v24, v3 dst_sel:DWORD dst_unused:UNUSED_PAD src0_sel:WORD_1 src1_sel:DWORD
	v_mul_f16_sdwa v111, v24, v80 dst_sel:DWORD dst_unused:UNUSED_PAD src0_sel:WORD_1 src1_sel:DWORD
	v_lshrrev_b32_e32 v85, 16, v22
	v_lshrrev_b32_e32 v86, 16, v63
	v_mul_f16_sdwa v116, v26, v82 dst_sel:DWORD dst_unused:UNUSED_PAD src0_sel:WORD_1 src1_sel:DWORD
	v_mul_f16_sdwa v117, v26, v62 dst_sel:DWORD dst_unused:UNUSED_PAD src0_sel:WORD_1 src1_sel:DWORD
	v_fmac_f16_e32 v111, v24, v3
	v_fma_f16 v3, v24, v80, -v112
	v_mul_f16_sdwa v80, v25, v81 dst_sel:DWORD dst_unused:UNUSED_PAD src0_sel:WORD_1 src1_sel:DWORD
	v_mul_f16_sdwa v112, v25, v21 dst_sel:DWORD dst_unused:UNUSED_PAD src0_sel:WORD_1 src1_sel:DWORD
	;; [unrolled: 1-line block ×3, first 2 shown]
	v_lshrrev_b32_e32 v90, 16, v66
	v_lshrrev_b32_e32 v95, 16, v68
	v_fmac_f16_e32 v80, v25, v21
	v_fma_f16 v21, v25, v81, -v112
	v_fmac_f16_e32 v116, v26, v62
	v_fma_f16 v62, v26, v82, -v117
	v_fmac_f16_e32 v118, v24, v4
	v_mul_f16_sdwa v4, v24, v4 dst_sel:DWORD dst_unused:UNUSED_PAD src0_sel:WORD_1 src1_sel:DWORD
	v_mul_f16_sdwa v81, v25, v85 dst_sel:DWORD dst_unused:UNUSED_PAD src0_sel:WORD_1 src1_sel:DWORD
	;; [unrolled: 1-line block ×5, first 2 shown]
	v_lshrrev_b32_e32 v96, 16, v70
	v_lshrrev_b32_e32 v103, 16, v67
	;; [unrolled: 1-line block ×3, first 2 shown]
	v_fma_f16 v4, v24, v84, -v4
	v_fmac_f16_e32 v81, v25, v22
	v_fma_f16 v22, v25, v85, -v82
	v_fmac_f16_e32 v112, v26, v63
	v_fma_f16 v63, v26, v86, -v117
	v_mul_f16_sdwa v82, v24, v90 dst_sel:DWORD dst_unused:UNUSED_PAD src0_sel:WORD_1 src1_sel:DWORD
	v_mul_f16_sdwa v84, v24, v66 dst_sel:DWORD dst_unused:UNUSED_PAD src0_sel:WORD_1 src1_sel:DWORD
	;; [unrolled: 1-line block ×4, first 2 shown]
	v_lshrrev_b32_e32 v105, 16, v71
	v_mul_f16_sdwa v117, v26, v96 dst_sel:DWORD dst_unused:UNUSED_PAD src0_sel:WORD_1 src1_sel:DWORD
	v_fmac_f16_e32 v82, v24, v66
	v_fma_f16 v66, v24, v90, -v84
	v_fmac_f16_e32 v85, v25, v68
	v_fma_f16 v68, v25, v95, -v86
	v_mul_f16_sdwa v84, v24, v103 dst_sel:DWORD dst_unused:UNUSED_PAD src0_sel:WORD_1 src1_sel:DWORD
	v_mul_f16_sdwa v86, v24, v67 dst_sel:DWORD dst_unused:UNUSED_PAD src0_sel:WORD_1 src1_sel:DWORD
	;; [unrolled: 1-line block ×4, first 2 shown]
	v_lshrrev_b32_e32 v107, 16, v74
	v_lshrrev_b32_e32 v108, 16, v76
	;; [unrolled: 1-line block ×3, first 2 shown]
	v_fmac_f16_e32 v117, v26, v70
	v_mul_f16_sdwa v70, v26, v70 dst_sel:DWORD dst_unused:UNUSED_PAD src0_sel:WORD_1 src1_sel:DWORD
	v_fmac_f16_e32 v84, v24, v67
	v_fma_f16 v67, v24, v103, -v86
	v_fmac_f16_e32 v90, v25, v69
	v_fma_f16 v69, v25, v104, -v95
	v_mul_f16_sdwa v86, v26, v105 dst_sel:DWORD dst_unused:UNUSED_PAD src0_sel:WORD_1 src1_sel:DWORD
	v_mul_f16_sdwa v95, v26, v71 dst_sel:DWORD dst_unused:UNUSED_PAD src0_sel:WORD_1 src1_sel:DWORD
	v_lshrrev_b32_e32 v109, 16, v78
	v_lshrrev_b32_e32 v114, 16, v77
	v_fma_f16 v70, v26, v96, -v70
	v_mul_f16_sdwa v96, v24, v107 dst_sel:DWORD dst_unused:UNUSED_PAD src0_sel:WORD_1 src1_sel:DWORD
	v_mul_f16_sdwa v103, v24, v74 dst_sel:DWORD dst_unused:UNUSED_PAD src0_sel:WORD_1 src1_sel:DWORD
	;; [unrolled: 1-line block ×3, first 2 shown]
	v_fmac_f16_e32 v86, v26, v71
	v_fma_f16 v71, v26, v105, -v95
	v_mul_f16_sdwa v105, v24, v113 dst_sel:DWORD dst_unused:UNUSED_PAD src0_sel:WORD_1 src1_sel:DWORD
	v_lshrrev_b32_e32 v115, 16, v79
	v_fmac_f16_e32 v96, v24, v74
	v_fma_f16 v74, v24, v107, -v103
	v_fmac_f16_e32 v104, v25, v76
	v_mul_f16_sdwa v76, v25, v76 dst_sel:DWORD dst_unused:UNUSED_PAD src0_sel:WORD_1 src1_sel:DWORD
	v_mul_f16_sdwa v95, v26, v109 dst_sel:DWORD dst_unused:UNUSED_PAD src0_sel:WORD_1 src1_sel:DWORD
	;; [unrolled: 1-line block ×4, first 2 shown]
	v_fmac_f16_e32 v105, v24, v75
	v_mul_f16_sdwa v75, v25, v114 dst_sel:DWORD dst_unused:UNUSED_PAD src0_sel:WORD_1 src1_sel:DWORD
	v_lshrrev_b32_e32 v83, 16, v2
	v_fma_f16 v76, v25, v108, -v76
	v_fmac_f16_e32 v95, v26, v78
	v_fma_f16 v78, v26, v109, -v103
	v_sub_f16_e32 v80, v1, v80
	v_sub_f16_e32 v21, v23, v21
	;; [unrolled: 1-line block ×4, first 2 shown]
	v_fmac_f16_e32 v75, v25, v77
	v_mul_f16_sdwa v77, v25, v77 dst_sel:DWORD dst_unused:UNUSED_PAD src0_sel:WORD_1 src1_sel:DWORD
	v_mul_f16_sdwa v108, v26, v115 dst_sel:DWORD dst_unused:UNUSED_PAD src0_sel:WORD_1 src1_sel:DWORD
	v_lshrrev_b32_e32 v87, 16, v64
	v_mul_f16_sdwa v109, v26, v79 dst_sel:DWORD dst_unused:UNUSED_PAD src0_sel:WORD_1 src1_sel:DWORD
	v_lshrrev_b32_e32 v102, 16, v65
	v_fma_f16 v24, v24, v113, -v107
	v_fma_f16 v1, v1, 2.0, -v80
	v_fma_f16 v23, v23, 2.0, -v21
	;; [unrolled: 1-line block ×4, first 2 shown]
	v_fma_f16 v25, v25, v114, -v77
	v_fmac_f16_e32 v108, v26, v79
	v_sub_f16_e32 v77, v2, v81
	v_sub_f16_e32 v79, v118, v112
	;; [unrolled: 1-line block ×4, first 2 shown]
	v_lshrrev_b32_e32 v106, 16, v72
	v_fma_f16 v26, v26, v115, -v109
	v_sub_f16_e32 v85, v64, v85
	v_sub_f16_e32 v68, v87, v68
	;; [unrolled: 1-line block ×4, first 2 shown]
	v_lshrrev_b32_e32 v110, 16, v73
	v_sub_f16_e32 v90, v65, v90
	v_sub_f16_e32 v86, v84, v86
	;; [unrolled: 1-line block ×6, first 2 shown]
	v_add_f16_e32 v62, v80, v62
	v_sub_f16_e32 v81, v21, v103
	v_fma_f16 v2, v2, 2.0, -v77
	v_fma_f16 v103, v118, 2.0, -v79
	;; [unrolled: 1-line block ×4, first 2 shown]
	v_sub_f16_e32 v104, v72, v104
	v_sub_f16_e32 v95, v96, v95
	;; [unrolled: 1-line block ×4, first 2 shown]
	v_fma_f16 v64, v64, 2.0, -v85
	v_fma_f16 v87, v87, 2.0, -v68
	v_fma_f16 v82, v82, 2.0, -v109
	v_fma_f16 v66, v66, 2.0, -v70
	v_sub_f16_e32 v75, v73, v75
	v_sub_f16_e32 v25, v110, v25
	;; [unrolled: 1-line block ×4, first 2 shown]
	v_fma_f16 v65, v65, 2.0, -v90
	v_fma_f16 v84, v84, 2.0, -v86
	;; [unrolled: 1-line block ×8, first 2 shown]
	v_sub_f16_e32 v103, v2, v103
	v_sub_f16_e32 v4, v83, v4
	v_add_f16_e32 v63, v77, v63
	v_sub_f16_e32 v79, v22, v79
	v_fma_f16 v72, v72, 2.0, -v104
	v_fma_f16 v96, v96, 2.0, -v95
	v_fma_f16 v106, v106, 2.0, -v76
	v_fma_f16 v74, v74, 2.0, -v78
	v_sub_f16_e32 v82, v64, v82
	v_sub_f16_e32 v66, v87, v66
	v_add_f16_e32 v70, v85, v70
	v_sub_f16_e32 v109, v68, v109
	v_fma_f16 v73, v73, 2.0, -v75
	v_fma_f16 v110, v110, 2.0, -v25
	v_fma_f16 v105, v105, 2.0, -v108
	v_fma_f16 v24, v24, 2.0, -v26
	;; [unrolled: 8-line block ×3, first 2 shown]
	v_pack_b32_f16 v1, v1, v23
	v_pack_b32_f16 v21, v80, v21
	v_sub_f16_e32 v96, v72, v96
	v_sub_f16_e32 v74, v106, v74
	v_add_f16_e32 v78, v104, v78
	v_sub_f16_e32 v95, v76, v95
	v_pack_b32_f16 v3, v107, v3
	v_pack_b32_f16 v23, v62, v81
	v_fma_f16 v64, v64, 2.0, -v82
	v_fma_f16 v87, v87, 2.0, -v66
	;; [unrolled: 1-line block ×4, first 2 shown]
	v_sub_f16_e32 v105, v73, v105
	v_sub_f16_e32 v24, v110, v24
	v_add_f16_e32 v26, v75, v26
	v_sub_f16_e32 v108, v25, v108
	v_fma_f16 v65, v65, 2.0, -v84
	v_fma_f16 v102, v102, 2.0, -v67
	;; [unrolled: 1-line block ×4, first 2 shown]
	ds_write2st64_b32 v88, v1, v21 offset1:1
	ds_write2st64_b32 v88, v3, v23 offset0:2 offset1:3
	v_pack_b32_f16 v1, v2, v83
	v_pack_b32_f16 v2, v77, v22
	v_fma_f16 v72, v72, 2.0, -v96
	v_fma_f16 v106, v106, 2.0, -v74
	;; [unrolled: 1-line block ×4, first 2 shown]
	v_pack_b32_f16 v3, v103, v4
	v_pack_b32_f16 v4, v63, v79
	;; [unrolled: 1-line block ×4, first 2 shown]
	v_fma_f16 v73, v73, 2.0, -v105
	v_fma_f16 v110, v110, 2.0, -v24
	v_fma_f16 v75, v75, 2.0, -v26
	v_fma_f16 v25, v25, 2.0, -v108
	v_pack_b32_f16 v23, v82, v66
	v_pack_b32_f16 v62, v70, v109
	;; [unrolled: 1-line block ×4, first 2 shown]
	ds_write2st64_b32 v94, v1, v2 offset1:1
	ds_write2st64_b32 v94, v3, v4 offset0:2 offset1:3
	ds_write2st64_b32 v93, v21, v22 offset1:1
	ds_write2st64_b32 v93, v23, v62 offset0:2 offset1:3
	ds_write2st64_b32 v92, v63, v64 offset1:1
	v_pack_b32_f16 v1, v84, v67
	v_pack_b32_f16 v2, v71, v86
	;; [unrolled: 1-line block ×10, first 2 shown]
	ds_write2st64_b32 v92, v1, v2 offset0:2 offset1:3
	ds_write2st64_b32 v91, v3, v4 offset1:1
	ds_write2st64_b32 v91, v21, v22 offset0:2 offset1:3
	ds_write2st64_b32 v89, v23, v25 offset1:1
	ds_write2st64_b32 v89, v24, v26 offset0:2 offset1:3
	s_waitcnt lgkmcnt(0)
	s_barrier
	buffer_gl0_inv
	ds_read2st64_b32 v[3:4], v44 offset1:8
	ds_read2st64_b32 v[21:22], v44 offset0:32 offset1:40
	ds_read2st64_b32 v[23:24], v44 offset0:64 offset1:72
	;; [unrolled: 1-line block ×11, first 2 shown]
	s_waitcnt lgkmcnt(0)
	s_barrier
	buffer_gl0_inv
	v_lshrrev_b32_e32 v76, 16, v3
	v_lshrrev_b32_e32 v77, 16, v21
	;; [unrolled: 1-line block ×4, first 2 shown]
	v_mul_f16_sdwa v105, v5, v21 dst_sel:DWORD dst_unused:UNUSED_PAD src0_sel:WORD_1 src1_sel:DWORD
	v_lshrrev_b32_e32 v80, 16, v62
	v_mul_f16_sdwa v103, v5, v77 dst_sel:DWORD dst_unused:UNUSED_PAD src0_sel:WORD_1 src1_sel:DWORD
	v_mul_f16_sdwa v107, v6, v78 dst_sel:DWORD dst_unused:UNUSED_PAD src0_sel:WORD_1 src1_sel:DWORD
	v_lshrrev_b32_e32 v81, 16, v64
	v_fma_f16 v77, v5, v77, -v105
	v_mul_f16_sdwa v105, v7, v79 dst_sel:DWORD dst_unused:UNUSED_PAD src0_sel:WORD_1 src1_sel:DWORD
	v_fmac_f16_e32 v103, v5, v21
	v_mul_f16_sdwa v21, v6, v23 dst_sel:DWORD dst_unused:UNUSED_PAD src0_sel:WORD_1 src1_sel:DWORD
	v_lshrrev_b32_e32 v83, 16, v22
	v_fmac_f16_e32 v107, v6, v23
	v_mul_f16_sdwa v23, v7, v25 dst_sel:DWORD dst_unused:UNUSED_PAD src0_sel:WORD_1 src1_sel:DWORD
	v_fmac_f16_e32 v105, v7, v25
	v_fma_f16 v21, v6, v78, -v21
	v_mul_f16_sdwa v78, v8, v80 dst_sel:DWORD dst_unused:UNUSED_PAD src0_sel:WORD_1 src1_sel:DWORD
	v_mul_f16_sdwa v25, v8, v62 dst_sel:DWORD dst_unused:UNUSED_PAD src0_sel:WORD_1 src1_sel:DWORD
	v_lshrrev_b32_e32 v84, 16, v24
	v_fma_f16 v23, v7, v79, -v23
	v_mul_f16_sdwa v79, v97, v81 dst_sel:DWORD dst_unused:UNUSED_PAD src0_sel:WORD_1 src1_sel:DWORD
	v_fmac_f16_e32 v78, v8, v62
	v_mul_f16_sdwa v62, v97, v64 dst_sel:DWORD dst_unused:UNUSED_PAD src0_sel:WORD_1 src1_sel:DWORD
	v_fma_f16 v25, v8, v80, -v25
	v_mul_f16_sdwa v80, v5, v83 dst_sel:DWORD dst_unused:UNUSED_PAD src0_sel:WORD_1 src1_sel:DWORD
	v_lshrrev_b32_e32 v85, 16, v26
	v_lshrrev_b32_e32 v86, 16, v63
	v_fmac_f16_e32 v79, v97, v64
	v_mul_f16_sdwa v64, v5, v22 dst_sel:DWORD dst_unused:UNUSED_PAD src0_sel:WORD_1 src1_sel:DWORD
	v_fma_f16 v62, v97, v81, -v62
	v_mul_f16_sdwa v81, v6, v84 dst_sel:DWORD dst_unused:UNUSED_PAD src0_sel:WORD_1 src1_sel:DWORD
	v_fmac_f16_e32 v80, v5, v22
	v_mul_f16_sdwa v22, v6, v24 dst_sel:DWORD dst_unused:UNUSED_PAD src0_sel:WORD_1 src1_sel:DWORD
	v_lshrrev_b32_e32 v87, 16, v65
	v_fma_f16 v64, v5, v83, -v64
	v_mul_f16_sdwa v83, v7, v85 dst_sel:DWORD dst_unused:UNUSED_PAD src0_sel:WORD_1 src1_sel:DWORD
	v_fmac_f16_e32 v81, v6, v24
	v_mul_f16_sdwa v24, v7, v26 dst_sel:DWORD dst_unused:UNUSED_PAD src0_sel:WORD_1 src1_sel:DWORD
	v_fma_f16 v22, v6, v84, -v22
	v_mul_f16_sdwa v84, v8, v86 dst_sel:DWORD dst_unused:UNUSED_PAD src0_sel:WORD_1 src1_sel:DWORD
	v_lshrrev_b32_e32 v89, 16, v66
	v_lshrrev_b32_e32 v90, 16, v68
	v_fmac_f16_e32 v83, v7, v26
	v_mul_f16_sdwa v26, v8, v63 dst_sel:DWORD dst_unused:UNUSED_PAD src0_sel:WORD_1 src1_sel:DWORD
	v_fma_f16 v24, v7, v85, -v24
	v_mul_f16_sdwa v85, v97, v87 dst_sel:DWORD dst_unused:UNUSED_PAD src0_sel:WORD_1 src1_sel:DWORD
	v_fmac_f16_e32 v84, v8, v63
	;; [unrolled: 15-line block ×4, first 2 shown]
	v_mul_f16_sdwa v74, v5, v67 dst_sel:DWORD dst_unused:UNUSED_PAD src0_sel:WORD_1 src1_sel:DWORD
	v_lshrrev_b32_e32 v104, 16, v73
	v_fma_f16 v72, v97, v93, -v72
	v_mul_f16_sdwa v93, v6, v96 dst_sel:DWORD dst_unused:UNUSED_PAD src0_sel:WORD_1 src1_sel:DWORD
	v_fmac_f16_e32 v92, v5, v67
	v_mul_f16_sdwa v67, v6, v69 dst_sel:DWORD dst_unused:UNUSED_PAD src0_sel:WORD_1 src1_sel:DWORD
	v_fma_f16 v5, v5, v95, -v74
	v_mul_f16_sdwa v74, v7, v102 dst_sel:DWORD dst_unused:UNUSED_PAD src0_sel:WORD_1 src1_sel:DWORD
	v_lshrrev_b32_e32 v106, 16, v75
	v_fmac_f16_e32 v93, v6, v69
	v_mul_f16_sdwa v69, v7, v71 dst_sel:DWORD dst_unused:UNUSED_PAD src0_sel:WORD_1 src1_sel:DWORD
	v_fma_f16 v6, v6, v96, -v67
	v_mul_f16_sdwa v67, v8, v104 dst_sel:DWORD dst_unused:UNUSED_PAD src0_sel:WORD_1 src1_sel:DWORD
	v_fmac_f16_e32 v74, v7, v71
	v_mul_f16_sdwa v71, v8, v73 dst_sel:DWORD dst_unused:UNUSED_PAD src0_sel:WORD_1 src1_sel:DWORD
	v_fma_f16 v7, v7, v102, -v69
	v_mul_f16_sdwa v69, v97, v106 dst_sel:DWORD dst_unused:UNUSED_PAD src0_sel:WORD_1 src1_sel:DWORD
	v_fmac_f16_e32 v67, v8, v73
	v_mul_f16_sdwa v73, v97, v75 dst_sel:DWORD dst_unused:UNUSED_PAD src0_sel:WORD_1 src1_sel:DWORD
	v_fma_f16 v8, v8, v104, -v71
	v_add_f16_e32 v71, v107, v78
	v_fmac_f16_e32 v69, v97, v75
	v_add_f16_e32 v75, v3, v107
	v_add_f16_e32 v95, v21, v25
	v_fma_f16 v73, v97, v106, -v73
	v_fma_f16 v3, -0.5, v71, v3
	v_sub_f16_e32 v71, v21, v25
	v_add_f16_e32 v21, v76, v21
	v_fmac_f16_e32 v76, -0.5, v95
	v_add_f16_e32 v75, v75, v78
	v_sub_f16_e32 v78, v107, v78
	v_fmamk_f16 v95, v71, 0xbaee, v3
	v_fmac_f16_e32 v3, 0x3aee, v71
	v_add_f16_e32 v71, v23, v62
	v_add_f16_e32 v96, v105, v79
	;; [unrolled: 1-line block ×4, first 2 shown]
	v_fmamk_f16 v25, v78, 0x3aee, v76
	v_fmac_f16_e32 v77, -0.5, v71
	v_sub_f16_e32 v71, v105, v79
	v_add_f16_e32 v102, v103, v105
	v_fmac_f16_e32 v103, -0.5, v96
	v_sub_f16_e32 v23, v23, v62
	v_fmac_f16_e32 v76, 0xbaee, v78
	v_fmamk_f16 v78, v71, 0x3aee, v77
	v_fmac_f16_e32 v77, 0xbaee, v71
	v_add_f16_e32 v71, v102, v79
	v_fmamk_f16 v79, v23, 0xbaee, v103
	v_fmac_f16_e32 v103, 0x3aee, v23
	v_add_f16_e32 v62, v97, v62
	v_mul_f16_e32 v96, 0xbaee, v77
	v_mul_f16_e32 v77, -0.5, v77
	v_mul_f16_e32 v23, 0xbaee, v78
	v_mul_f16_e32 v78, 0.5, v78
	v_lshrrev_b32_e32 v82, 16, v4
	v_fmac_f16_e32 v96, -0.5, v103
	v_fmac_f16_e32 v77, 0x3aee, v103
	v_add_f16_e32 v103, v21, v62
	v_sub_f16_e32 v21, v21, v62
	v_add_f16_e32 v62, v81, v84
	v_add_f16_e32 v97, v75, v71
	v_fmac_f16_e32 v78, 0x3aee, v79
	v_sub_f16_e32 v71, v75, v71
	v_add_f16_e32 v75, v4, v81
	v_fmac_f16_e32 v4, -0.5, v62
	v_sub_f16_e32 v62, v22, v26
	v_add_f16_e32 v104, v25, v78
	v_add_f16_e32 v105, v76, v77
	v_sub_f16_e32 v25, v25, v78
	v_sub_f16_e32 v76, v76, v77
	v_add_f16_e32 v77, v22, v26
	v_fmamk_f16 v78, v62, 0xbaee, v4
	v_fmac_f16_e32 v4, 0x3aee, v62
	v_add_f16_e32 v62, v24, v63
	v_add_f16_e32 v75, v75, v84
	;; [unrolled: 1-line block ×3, first 2 shown]
	v_fmac_f16_e32 v82, -0.5, v77
	v_sub_f16_e32 v77, v81, v84
	v_add_f16_e32 v81, v83, v85
	v_add_f16_e32 v84, v64, v24
	v_fmac_f16_e32 v64, -0.5, v62
	v_sub_f16_e32 v62, v83, v85
	v_add_f16_e32 v22, v22, v26
	v_fmamk_f16 v26, v77, 0x3aee, v82
	v_add_f16_e32 v83, v80, v83
	v_fmac_f16_e32 v80, -0.5, v81
	v_sub_f16_e32 v24, v24, v63
	v_fmac_f16_e32 v82, 0xbaee, v77
	v_fmamk_f16 v77, v62, 0x3aee, v64
	v_add_f16_e32 v63, v84, v63
	v_fmac_f16_e32 v64, 0xbaee, v62
	v_add_f16_e32 v62, v83, v85
	v_fmamk_f16 v81, v24, 0xbaee, v80
	v_fmac_f16_e32 v80, 0x3aee, v24
	v_mul_f16_e32 v24, 0xbaee, v77
	v_mul_f16_e32 v77, 0.5, v77
	v_add_f16_e32 v85, v22, v63
	v_sub_f16_e32 v22, v22, v63
	v_add_f16_e32 v63, v87, v90
	v_lshrrev_b32_e32 v88, 16, v1
	v_fmac_f16_e32 v23, 0.5, v79
	v_mul_f16_e32 v83, 0xbaee, v64
	v_mul_f16_e32 v64, -0.5, v64
	v_fmac_f16_e32 v24, 0.5, v81
	v_add_f16_e32 v84, v75, v62
	v_fmac_f16_e32 v77, 0x3aee, v81
	v_sub_f16_e32 v62, v75, v62
	v_add_f16_e32 v75, v1, v87
	v_fma_f16 v1, -0.5, v63, v1
	v_sub_f16_e32 v63, v66, v70
	v_add_f16_e32 v79, v95, v23
	v_sub_f16_e32 v23, v95, v23
	v_fmac_f16_e32 v83, -0.5, v80
	v_fmac_f16_e32 v64, 0x3aee, v80
	v_add_f16_e32 v80, v78, v24
	v_add_f16_e32 v95, v26, v77
	v_sub_f16_e32 v24, v78, v24
	v_sub_f16_e32 v26, v26, v77
	v_add_f16_e32 v77, v66, v70
	v_fmamk_f16 v78, v63, 0xbaee, v1
	v_fmac_f16_e32 v1, 0x3aee, v63
	v_add_f16_e32 v63, v68, v72
	v_add_f16_e32 v102, v3, v96
	v_sub_f16_e32 v3, v3, v96
	v_add_f16_e32 v81, v4, v83
	v_add_f16_e32 v96, v82, v64
	v_sub_f16_e32 v4, v4, v83
	v_sub_f16_e32 v64, v82, v64
	v_add_f16_e32 v66, v88, v66
	v_fmac_f16_e32 v88, -0.5, v77
	v_sub_f16_e32 v77, v87, v90
	v_add_f16_e32 v82, v89, v91
	v_add_f16_e32 v83, v65, v68
	v_fmac_f16_e32 v65, -0.5, v63
	v_sub_f16_e32 v63, v89, v91
	v_add_f16_e32 v66, v66, v70
	v_fmamk_f16 v70, v77, 0x3aee, v88
	v_add_f16_e32 v87, v86, v89
	v_fmac_f16_e32 v86, -0.5, v82
	v_sub_f16_e32 v68, v68, v72
	v_fmac_f16_e32 v88, 0xbaee, v77
	v_fmamk_f16 v77, v63, 0x3aee, v65
	v_add_f16_e32 v72, v83, v72
	v_add_f16_e32 v75, v75, v90
	v_fmamk_f16 v82, v68, 0xbaee, v86
	v_fmac_f16_e32 v86, 0x3aee, v68
	v_mul_f16_e32 v68, 0xbaee, v77
	v_mul_f16_e32 v77, 0.5, v77
	v_fmac_f16_e32 v65, 0xbaee, v63
	v_add_f16_e32 v63, v87, v91
	v_add_f16_e32 v89, v66, v72
	v_sub_f16_e32 v66, v66, v72
	v_fmac_f16_e32 v77, 0x3aee, v82
	v_add_f16_e32 v72, v93, v67
	v_lshrrev_b32_e32 v94, 16, v2
	v_mul_f16_e32 v87, 0xbaee, v65
	v_add_f16_e32 v83, v75, v63
	v_add_f16_e32 v90, v70, v77
	v_sub_f16_e32 v63, v75, v63
	v_sub_f16_e32 v70, v70, v77
	v_add_f16_e32 v75, v2, v93
	v_add_f16_e32 v77, v6, v8
	v_fmac_f16_e32 v2, -0.5, v72
	v_sub_f16_e32 v72, v6, v8
	v_mul_f16_e32 v65, -0.5, v65
	v_fmac_f16_e32 v68, 0.5, v82
	v_fmac_f16_e32 v87, -0.5, v86
	v_add_f16_e32 v6, v94, v6
	v_fmac_f16_e32 v94, -0.5, v77
	v_fmamk_f16 v77, v72, 0xbaee, v2
	v_fmac_f16_e32 v2, 0x3aee, v72
	v_add_f16_e32 v72, v7, v73
	v_fmac_f16_e32 v65, 0x3aee, v86
	v_add_f16_e32 v82, v78, v68
	v_add_f16_e32 v86, v1, v87
	v_sub_f16_e32 v68, v78, v68
	v_sub_f16_e32 v1, v1, v87
	v_add_f16_e32 v75, v75, v67
	v_sub_f16_e32 v67, v93, v67
	v_add_f16_e32 v78, v74, v69
	v_add_f16_e32 v87, v5, v7
	v_fmac_f16_e32 v5, -0.5, v72
	v_sub_f16_e32 v72, v74, v69
	v_add_f16_e32 v6, v6, v8
	v_fmamk_f16 v8, v67, 0x3aee, v94
	v_add_f16_e32 v74, v92, v74
	v_fmac_f16_e32 v92, -0.5, v78
	v_sub_f16_e32 v7, v7, v73
	v_fmac_f16_e32 v94, 0xbaee, v67
	v_fmamk_f16 v67, v72, 0x3aee, v5
	v_fmac_f16_e32 v5, 0xbaee, v72
	v_add_f16_e32 v69, v74, v69
	v_fmamk_f16 v72, v7, 0xbaee, v92
	v_fmac_f16_e32 v92, 0x3aee, v7
	v_mul_f16_e32 v7, 0xbaee, v67
	v_mul_f16_e32 v67, 0.5, v67
	v_mul_f16_e32 v74, 0xbaee, v5
	v_add_f16_e32 v73, v87, v73
	v_mul_f16_e32 v5, -0.5, v5
	v_add_f16_e32 v91, v88, v65
	v_fmac_f16_e32 v67, 0x3aee, v72
	v_fmac_f16_e32 v74, -0.5, v92
	v_sub_f16_e32 v65, v88, v65
	v_fmac_f16_e32 v5, 0x3aee, v92
	v_add_f16_e32 v88, v6, v73
	v_add_f16_e32 v92, v8, v67
	v_sub_f16_e32 v6, v6, v73
	v_sub_f16_e32 v8, v8, v67
	v_pack_b32_f16 v67, v97, v103
	v_pack_b32_f16 v73, v79, v104
	v_add_f16_e32 v87, v2, v74
	v_sub_f16_e32 v2, v2, v74
	v_pack_b32_f16 v74, v102, v105
	v_pack_b32_f16 v21, v71, v21
	v_fmac_f16_e32 v7, 0.5, v72
	ds_write2st64_b32 v100, v67, v73 offset1:4
	ds_write2st64_b32 v100, v74, v21 offset0:8 offset1:12
	v_pack_b32_f16 v21, v23, v25
	v_pack_b32_f16 v3, v3, v76
	;; [unrolled: 1-line block ×4, first 2 shown]
	v_add_f16_e32 v78, v75, v69
	v_add_f16_e32 v72, v77, v7
	v_pack_b32_f16 v67, v81, v96
	v_pack_b32_f16 v22, v62, v22
	v_add_f16_e32 v93, v94, v5
	v_sub_f16_e32 v69, v75, v69
	v_pack_b32_f16 v24, v24, v26
	v_pack_b32_f16 v4, v4, v64
	v_sub_f16_e32 v7, v77, v7
	v_sub_f16_e32 v5, v94, v5
	v_pack_b32_f16 v26, v83, v89
	v_pack_b32_f16 v62, v82, v90
	ds_write2st64_b32 v100, v21, v3 offset0:16 offset1:20
	ds_write2st64_b32 v101, v23, v25 offset1:4
	ds_write2st64_b32 v101, v67, v22 offset0:8 offset1:12
	ds_write2st64_b32 v101, v24, v4 offset0:16 offset1:20
	ds_write2st64_b32 v99, v26, v62 offset1:4
	v_pack_b32_f16 v3, v86, v91
	v_pack_b32_f16 v4, v63, v66
	;; [unrolled: 1-line block ×10, first 2 shown]
	ds_write2st64_b32 v99, v3, v4 offset0:8 offset1:12
	ds_write2st64_b32 v99, v21, v1 offset0:16 offset1:20
	ds_write2st64_b32 v98, v22, v23 offset1:4
	ds_write2st64_b32 v98, v24, v6 offset0:8 offset1:12
	ds_write2st64_b32 v98, v7, v2 offset0:16 offset1:20
	s_waitcnt lgkmcnt(0)
	s_barrier
	buffer_gl0_inv
	ds_read2st64_b32 v[1:2], v44 offset1:8
	ds_read2st64_b32 v[3:4], v44 offset0:16 offset1:24
	ds_read2st64_b32 v[5:6], v44 offset0:48 offset1:56
	;; [unrolled: 1-line block ×11, first 2 shown]
	s_waitcnt lgkmcnt(11)
	v_lshrrev_b32_e32 v72, 16, v1
	s_waitcnt lgkmcnt(10)
	v_lshrrev_b32_e32 v73, 16, v4
	;; [unrolled: 2-line block ×4, first 2 shown]
	v_mul_f16_sdwa v96, v13, v4 dst_sel:DWORD dst_unused:UNUSED_PAD src0_sel:WORD_1 src1_sel:DWORD
	s_waitcnt lgkmcnt(7)
	v_lshrrev_b32_e32 v76, 16, v21
	v_mul_f16_sdwa v93, v13, v73 dst_sel:DWORD dst_unused:UNUSED_PAD src0_sel:WORD_1 src1_sel:DWORD
	s_waitcnt lgkmcnt(6)
	v_lshrrev_b32_e32 v77, 16, v24
	s_waitcnt lgkmcnt(5)
	v_lshrrev_b32_e32 v78, 16, v25
	v_mul_f16_sdwa v98, v14, v5 dst_sel:DWORD dst_unused:UNUSED_PAD src0_sel:WORD_1 src1_sel:DWORD
	s_waitcnt lgkmcnt(4)
	v_lshrrev_b32_e32 v79, 16, v63
	v_fmac_f16_e32 v93, v13, v4
	v_mul_f16_sdwa v4, v14, v74 dst_sel:DWORD dst_unused:UNUSED_PAD src0_sel:WORD_1 src1_sel:DWORD
	v_fma_f16 v13, v13, v73, -v96
	v_mul_f16_sdwa v73, v15, v75 dst_sel:DWORD dst_unused:UNUSED_PAD src0_sel:WORD_1 src1_sel:DWORD
	v_mul_f16_sdwa v96, v15, v8 dst_sel:DWORD dst_unused:UNUSED_PAD src0_sel:WORD_1 src1_sel:DWORD
	s_waitcnt lgkmcnt(3)
	v_lshrrev_b32_e32 v81, 16, v64
	v_fmac_f16_e32 v4, v14, v5
	v_fma_f16 v5, v14, v74, -v98
	v_mul_f16_sdwa v14, v16, v76 dst_sel:DWORD dst_unused:UNUSED_PAD src0_sel:WORD_1 src1_sel:DWORD
	v_fmac_f16_e32 v73, v15, v8
	v_fma_f16 v8, v15, v75, -v96
	v_mul_f16_sdwa v15, v16, v21 dst_sel:DWORD dst_unused:UNUSED_PAD src0_sel:WORD_1 src1_sel:DWORD
	v_mul_f16_sdwa v74, v30, v77 dst_sel:DWORD dst_unused:UNUSED_PAD src0_sel:WORD_1 src1_sel:DWORD
	v_mul_f16_sdwa v75, v31, v78 dst_sel:DWORD dst_unused:UNUSED_PAD src0_sel:WORD_1 src1_sel:DWORD
	v_lshrrev_b32_e32 v82, 16, v6
	v_fmac_f16_e32 v14, v16, v21
	v_mul_f16_sdwa v21, v30, v24 dst_sel:DWORD dst_unused:UNUSED_PAD src0_sel:WORD_1 src1_sel:DWORD
	v_fma_f16 v15, v16, v76, -v15
	v_fmac_f16_e32 v74, v30, v24
	v_mul_f16_sdwa v16, v31, v25 dst_sel:DWORD dst_unused:UNUSED_PAD src0_sel:WORD_1 src1_sel:DWORD
	v_fmac_f16_e32 v75, v31, v25
	v_mul_f16_sdwa v24, v32, v79 dst_sel:DWORD dst_unused:UNUSED_PAD src0_sel:WORD_1 src1_sel:DWORD
	v_mul_f16_sdwa v25, v32, v63 dst_sel:DWORD dst_unused:UNUSED_PAD src0_sel:WORD_1 src1_sel:DWORD
	s_waitcnt lgkmcnt(2)
	v_lshrrev_b32_e32 v83, 16, v66
	v_lshrrev_b32_e32 v84, 16, v22
	v_fma_f16 v21, v30, v77, -v21
	v_fma_f16 v16, v31, v78, -v16
	v_mul_f16_sdwa v30, v9, v81 dst_sel:DWORD dst_unused:UNUSED_PAD src0_sel:WORD_1 src1_sel:DWORD
	v_mul_f16_sdwa v31, v9, v64 dst_sel:DWORD dst_unused:UNUSED_PAD src0_sel:WORD_1 src1_sel:DWORD
	v_fmac_f16_e32 v24, v32, v63
	v_fma_f16 v25, v32, v79, -v25
	v_mul_f16_sdwa v32, v10, v82 dst_sel:DWORD dst_unused:UNUSED_PAD src0_sel:WORD_1 src1_sel:DWORD
	s_waitcnt lgkmcnt(1)
	v_lshrrev_b32_e32 v85, 16, v68
	v_fmac_f16_e32 v30, v9, v64
	v_fma_f16 v9, v9, v81, -v31
	v_mul_f16_sdwa v31, v10, v6 dst_sel:DWORD dst_unused:UNUSED_PAD src0_sel:WORD_1 src1_sel:DWORD
	v_mul_f16_sdwa v63, v11, v83 dst_sel:DWORD dst_unused:UNUSED_PAD src0_sel:WORD_1 src1_sel:DWORD
	v_fmac_f16_e32 v32, v10, v6
	v_mul_f16_sdwa v6, v11, v66 dst_sel:DWORD dst_unused:UNUSED_PAD src0_sel:WORD_1 src1_sel:DWORD
	v_mul_f16_sdwa v64, v12, v84 dst_sel:DWORD dst_unused:UNUSED_PAD src0_sel:WORD_1 src1_sel:DWORD
	v_lshrrev_b32_e32 v86, 16, v26
	s_waitcnt lgkmcnt(0)
	v_lshrrev_b32_e32 v87, 16, v70
	v_fma_f16 v10, v10, v82, -v31
	v_fmac_f16_e32 v63, v11, v66
	v_mul_f16_sdwa v31, v12, v22 dst_sel:DWORD dst_unused:UNUSED_PAD src0_sel:WORD_1 src1_sel:DWORD
	v_fma_f16 v6, v11, v83, -v6
	v_fmac_f16_e32 v64, v12, v22
	v_mul_f16_sdwa v11, v27, v85 dst_sel:DWORD dst_unused:UNUSED_PAD src0_sel:WORD_1 src1_sel:DWORD
	v_mul_f16_sdwa v22, v27, v68 dst_sel:DWORD dst_unused:UNUSED_PAD src0_sel:WORD_1 src1_sel:DWORD
	v_lshrrev_b32_e32 v90, 16, v7
	v_fma_f16 v12, v12, v84, -v31
	v_mul_f16_sdwa v31, v28, v86 dst_sel:DWORD dst_unused:UNUSED_PAD src0_sel:WORD_1 src1_sel:DWORD
	v_mul_f16_sdwa v66, v28, v26 dst_sel:DWORD dst_unused:UNUSED_PAD src0_sel:WORD_1 src1_sel:DWORD
	v_fmac_f16_e32 v11, v27, v68
	v_fma_f16 v22, v27, v85, -v22
	v_mul_f16_sdwa v27, v29, v87 dst_sel:DWORD dst_unused:UNUSED_PAD src0_sel:WORD_1 src1_sel:DWORD
	v_lshrrev_b32_e32 v89, 16, v65
	v_lshrrev_b32_e32 v91, 16, v67
	v_fmac_f16_e32 v31, v28, v26
	v_fma_f16 v26, v28, v86, -v66
	v_mul_f16_sdwa v28, v29, v70 dst_sel:DWORD dst_unused:UNUSED_PAD src0_sel:WORD_1 src1_sel:DWORD
	v_fmac_f16_e32 v27, v29, v70
	v_mul_f16_sdwa v70, v18, v90 dst_sel:DWORD dst_unused:UNUSED_PAD src0_sel:WORD_1 src1_sel:DWORD
	v_lshrrev_b32_e32 v92, 16, v23
	v_lshrrev_b32_e32 v95, 16, v62
	v_mul_f16_sdwa v66, v17, v89 dst_sel:DWORD dst_unused:UNUSED_PAD src0_sel:WORD_1 src1_sel:DWORD
	v_mul_f16_sdwa v68, v17, v65 dst_sel:DWORD dst_unused:UNUSED_PAD src0_sel:WORD_1 src1_sel:DWORD
	v_fma_f16 v28, v29, v87, -v28
	v_mul_f16_sdwa v29, v18, v7 dst_sel:DWORD dst_unused:UNUSED_PAD src0_sel:WORD_1 src1_sel:DWORD
	v_fmac_f16_e32 v70, v18, v7
	v_mul_f16_sdwa v7, v19, v91 dst_sel:DWORD dst_unused:UNUSED_PAD src0_sel:WORD_1 src1_sel:DWORD
	v_lshrrev_b32_e32 v94, 16, v69
	v_fmac_f16_e32 v66, v17, v65
	v_fma_f16 v17, v17, v89, -v68
	v_mul_f16_sdwa v65, v19, v67 dst_sel:DWORD dst_unused:UNUSED_PAD src0_sel:WORD_1 src1_sel:DWORD
	v_fma_f16 v18, v18, v90, -v29
	v_mul_f16_sdwa v29, v20, v92 dst_sel:DWORD dst_unused:UNUSED_PAD src0_sel:WORD_1 src1_sel:DWORD
	v_mul_f16_sdwa v68, v20, v23 dst_sel:DWORD dst_unused:UNUSED_PAD src0_sel:WORD_1 src1_sel:DWORD
	v_fmac_f16_e32 v7, v19, v67
	v_mul_f16_sdwa v67, v34, v95 dst_sel:DWORD dst_unused:UNUSED_PAD src0_sel:WORD_1 src1_sel:DWORD
	v_fma_f16 v19, v19, v91, -v65
	v_mul_f16_sdwa v65, v33, v94 dst_sel:DWORD dst_unused:UNUSED_PAD src0_sel:WORD_1 src1_sel:DWORD
	v_fmac_f16_e32 v29, v20, v23
	v_fma_f16 v20, v20, v92, -v68
	v_mul_f16_sdwa v23, v33, v69 dst_sel:DWORD dst_unused:UNUSED_PAD src0_sel:WORD_1 src1_sel:DWORD
	v_mul_f16_sdwa v68, v34, v62 dst_sel:DWORD dst_unused:UNUSED_PAD src0_sel:WORD_1 src1_sel:DWORD
	v_fmac_f16_e32 v67, v34, v62
	v_sub_f16_e32 v14, v1, v14
	v_sub_f16_e32 v15, v72, v15
	v_sub_f16_e32 v16, v5, v16
	v_sub_f16_e32 v62, v93, v74
	v_sub_f16_e32 v21, v13, v21
	v_sub_f16_e32 v25, v8, v25
	v_lshrrev_b32_e32 v97, 16, v71
	v_fmac_f16_e32 v65, v33, v69
	v_fma_f16 v23, v33, v94, -v23
	v_fma_f16 v33, v34, v95, -v68
	v_sub_f16_e32 v34, v4, v75
	v_fma_f16 v68, v72, 2.0, -v15
	v_fma_f16 v5, v5, 2.0, -v16
	v_sub_f16_e32 v24, v73, v24
	v_fma_f16 v13, v13, 2.0, -v21
	v_fma_f16 v8, v8, 2.0, -v25
	v_add_f16_e32 v16, v14, v16
	v_add_f16_e32 v25, v62, v25
	v_mul_f16_sdwa v69, v35, v97 dst_sel:DWORD dst_unused:UNUSED_PAD src0_sel:WORD_1 src1_sel:DWORD
	v_fma_f16 v1, v1, 2.0, -v14
	v_fma_f16 v4, v4, 2.0, -v34
	;; [unrolled: 1-line block ×3, first 2 shown]
	v_sub_f16_e32 v5, v68, v5
	v_fma_f16 v73, v73, 2.0, -v24
	v_sub_f16_e32 v34, v15, v34
	v_fma_f16 v14, v14, 2.0, -v16
	v_sub_f16_e32 v24, v21, v24
	v_sub_f16_e32 v8, v13, v8
	v_fma_f16 v62, v62, 2.0, -v25
	v_fmac_f16_e32 v69, v35, v71
	v_fma_f16 v68, v68, 2.0, -v5
	v_fma_f16 v15, v15, 2.0, -v34
	;; [unrolled: 1-line block ×4, first 2 shown]
	v_fmamk_f16 v74, v62, 0xb9a8, v14
	v_mul_f16_sdwa v71, v35, v71 dst_sel:DWORD dst_unused:UNUSED_PAD src0_sel:WORD_1 src1_sel:DWORD
	v_lshrrev_b32_e32 v80, 16, v2
	v_fmamk_f16 v75, v21, 0xb9a8, v15
	v_sub_f16_e32 v13, v68, v13
	v_fmac_f16_e32 v74, 0x39a8, v21
	v_fma_f16 v21, v35, v97, -v71
	v_fmamk_f16 v71, v24, 0x39a8, v34
	v_sub_f16_e32 v64, v2, v64
	v_fma_f16 v35, v68, 2.0, -v13
	v_fmamk_f16 v68, v25, 0x39a8, v16
	v_sub_f16_e32 v12, v80, v12
	v_fmac_f16_e32 v71, 0xb9a8, v25
	v_sub_f16_e32 v25, v10, v26
	v_sub_f16_e32 v11, v30, v11
	v_sub_f16_e32 v22, v9, v22
	v_sub_f16_e32 v28, v6, v28
	v_fmac_f16_e32 v68, 0x39a8, v24
	v_sub_f16_e32 v24, v32, v31
	v_fma_f16 v26, v80, 2.0, -v12
	v_fma_f16 v10, v10, 2.0, -v25
	v_sub_f16_e32 v27, v63, v27
	v_fma_f16 v9, v9, 2.0, -v22
	v_fma_f16 v6, v6, 2.0, -v28
	v_add_f16_e32 v25, v64, v25
	v_add_f16_e32 v28, v11, v28
	v_fma_f16 v31, v32, 2.0, -v24
	v_fma_f16 v30, v30, 2.0, -v11
	v_sub_f16_e32 v10, v26, v10
	v_fma_f16 v32, v63, 2.0, -v27
	v_sub_f16_e32 v24, v12, v24
	;; [unrolled: 2-line block ×3, first 2 shown]
	v_sub_f16_e32 v6, v9, v6
	v_fma_f16 v11, v11, 2.0, -v28
	v_sub_f16_e32 v73, v72, v73
	v_fma_f16 v2, v2, 2.0, -v64
	v_fma_f16 v26, v26, 2.0, -v10
	;; [unrolled: 1-line block ×5, first 2 shown]
	v_fmamk_f16 v64, v11, 0xb9a8, v63
	v_fma_f16 v72, v72, 2.0, -v73
	v_fmac_f16_e32 v75, 0xb9a8, v62
	v_sub_f16_e32 v62, v5, v73
	v_fmamk_f16 v73, v22, 0xb9a8, v12
	v_sub_f16_e32 v9, v26, v9
	v_fmac_f16_e32 v64, 0x39a8, v22
	v_lshrrev_b32_e32 v88, 16, v3
	v_fma_f16 v22, v34, 2.0, -v71
	v_fmac_f16_e32 v73, 0xb9a8, v11
	v_fma_f16 v11, v26, 2.0, -v9
	v_fma_f16 v26, v63, 2.0, -v64
	v_fmamk_f16 v63, v27, 0x39a8, v24
	v_fmamk_f16 v34, v28, 0x39a8, v25
	v_sub_f16_e32 v20, v88, v20
	v_sub_f16_e32 v23, v17, v23
	;; [unrolled: 1-line block ×3, first 2 shown]
	v_fmac_f16_e32 v63, 0xb9a8, v28
	v_sub_f16_e32 v28, v18, v33
	v_sub_f16_e32 v29, v3, v29
	v_fmac_f16_e32 v34, 0x39a8, v27
	v_sub_f16_e32 v27, v70, v67
	v_sub_f16_e32 v33, v66, v65
	v_fma_f16 v65, v88, 2.0, -v20
	v_fma_f16 v18, v18, 2.0, -v28
	v_sub_f16_e32 v69, v7, v69
	v_fma_f16 v17, v17, 2.0, -v23
	v_fma_f16 v19, v19, 2.0, -v21
	;; [unrolled: 1-line block ×5, first 2 shown]
	v_sub_f16_e32 v18, v65, v18
	v_fma_f16 v7, v7, 2.0, -v69
	v_add_f16_e32 v28, v29, v28
	v_sub_f16_e32 v27, v20, v27
	v_add_f16_e32 v21, v33, v21
	v_sub_f16_e32 v19, v17, v19
	v_sub_f16_e32 v69, v23, v69
	;; [unrolled: 1-line block ×6, first 2 shown]
	v_fma_f16 v65, v65, 2.0, -v18
	v_fma_f16 v29, v29, 2.0, -v28
	v_sub_f16_e32 v7, v66, v7
	v_fma_f16 v20, v20, 2.0, -v27
	v_fma_f16 v33, v33, 2.0, -v21
	;; [unrolled: 1-line block ×7, first 2 shown]
	v_add_f16_e32 v8, v4, v8
	v_add_f16_e32 v6, v31, v6
	v_sub_f16_e32 v32, v10, v32
	v_fma_f16 v3, v3, 2.0, -v67
	v_fma_f16 v66, v66, 2.0, -v7
	v_fmamk_f16 v70, v33, 0xb9a8, v29
	v_sub_f16_e32 v17, v65, v17
	v_fmamk_f16 v76, v23, 0xb9a8, v20
	v_sub_f16_e32 v72, v1, v72
	v_sub_f16_e32 v30, v2, v30
	v_fma_f16 v4, v4, 2.0, -v8
	v_fma_f16 v5, v5, 2.0, -v62
	;; [unrolled: 1-line block ×4, first 2 shown]
	v_sub_f16_e32 v66, v3, v66
	v_fmac_f16_e32 v70, 0x39a8, v23
	v_fma_f16 v23, v65, 2.0, -v17
	v_fmac_f16_e32 v76, 0xb9a8, v33
	v_fmamk_f16 v33, v21, 0x39a8, v28
	v_fmamk_f16 v65, v69, 0x39a8, v27
	v_fma_f16 v1, v1, 2.0, -v72
	v_fma_f16 v2, v2, 2.0, -v30
	v_add_f16_e32 v19, v67, v19
	v_sub_f16_e32 v7, v18, v7
	v_fma_f16 v14, v14, 2.0, -v74
	v_fma_f16 v15, v15, 2.0, -v75
	;; [unrolled: 1-line block ×3, first 2 shown]
	v_fmac_f16_e32 v33, 0x39a8, v69
	v_fmac_f16_e32 v65, 0xb9a8, v21
	v_pack_b32_f16 v4, v4, v5
	v_pack_b32_f16 v10, v31, v10
	v_fma_f16 v12, v12, 2.0, -v73
	v_fma_f16 v29, v29, 2.0, -v70
	;; [unrolled: 1-line block ×3, first 2 shown]
	v_pack_b32_f16 v1, v1, v35
	v_pack_b32_f16 v13, v72, v13
	;; [unrolled: 1-line block ×4, first 2 shown]
	v_fma_f16 v16, v16, 2.0, -v68
	v_fma_f16 v21, v67, 2.0, -v19
	;; [unrolled: 1-line block ×7, first 2 shown]
	v_pack_b32_f16 v14, v14, v15
	v_pack_b32_f16 v8, v8, v62
	ds_write2st64_b32 v44, v4, v10 offset0:48 offset1:56
	v_pack_b32_f16 v4, v6, v32
	v_pack_b32_f16 v3, v3, v23
	ds_write2st64_b32 v44, v1, v2 offset1:8
	v_pack_b32_f16 v1, v26, v12
	ds_write2st64_b32 v44, v13, v9 offset0:96 offset1:104
	v_pack_b32_f16 v9, v29, v20
	v_pack_b32_f16 v5, v16, v22
	;; [unrolled: 1-line block ×4, first 2 shown]
	ds_write2st64_b32 v44, v8, v4 offset0:144 offset1:152
	ds_write2st64_b32 v44, v3, v14 offset0:16 offset1:24
	;; [unrolled: 1-line block ×4, first 2 shown]
	v_pack_b32_f16 v1, v28, v27
	v_pack_b32_f16 v15, v74, v75
	;; [unrolled: 1-line block ×9, first 2 shown]
	ds_write2st64_b32 v44, v2, v1 offset0:80 offset1:88
	ds_write2st64_b32 v44, v3, v15 offset0:112 offset1:120
	;; [unrolled: 1-line block ×5, first 2 shown]
	s_waitcnt lgkmcnt(0)
	s_barrier
	buffer_gl0_inv
	ds_read2st64_b32 v[10:11], v44 offset1:8
	s_waitcnt lgkmcnt(0)
	v_lshrrev_b32_e32 v3, 16, v10
	v_mul_f16_sdwa v4, v61, v10 dst_sel:DWORD dst_unused:UNUSED_PAD src0_sel:WORD_1 src1_sel:DWORD
	v_mul_f16_sdwa v1, v61, v3 dst_sel:DWORD dst_unused:UNUSED_PAD src0_sel:WORD_1 src1_sel:DWORD
	v_fma_f16 v3, v61, v3, -v4
	v_fmac_f16_e32 v1, v61, v10
	v_cvt_f32_f16_e32 v3, v3
	v_cvt_f32_f16_e32 v1, v1
	v_cvt_f64_f32_e32 v[3:4], v3
	v_cvt_f64_f32_e32 v[1:2], v1
	v_mul_f64 v[8:9], v[3:4], s[2:3]
	v_mul_f64 v[6:7], v[1:2], s[2:3]
	ds_read2st64_b32 v[2:3], v44 offset0:16 offset1:24
	v_and_or_b32 v8, 0x1ff, v9, v8
	v_lshrrev_b32_e32 v12, 8, v9
	v_bfe_u32 v16, v9, 20, 11
	s_waitcnt lgkmcnt(0)
	v_lshrrev_b32_e32 v15, 16, v3
	v_and_or_b32 v1, 0x1ff, v7, v6
	v_lshrrev_b32_e32 v4, 8, v7
	v_bfe_u32 v5, v7, 20, 11
	v_lshrrev_b32_e32 v7, 16, v7
	v_mul_f16_sdwa v13, v60, v15 dst_sel:DWORD dst_unused:UNUSED_PAD src0_sel:WORD_1 src1_sel:DWORD
	v_cmp_ne_u32_e32 vcc_lo, 0, v1
	v_lshrrev_b32_e32 v9, 16, v9
	v_add_nc_u32_e32 v17, 0xfffffc10, v5
	v_fmac_f16_e32 v13, v60, v3
	v_cndmask_b32_e64 v1, 0, 1, vcc_lo
	v_cmp_ne_u32_e32 vcc_lo, 0, v8
	v_mul_f16_sdwa v3, v60, v3 dst_sel:DWORD dst_unused:UNUSED_PAD src0_sel:WORD_1 src1_sel:DWORD
	v_and_or_b32 v6, 0xffe, v4, v1
	v_sub_nc_u32_e32 v1, 0x3f1, v5
	v_cndmask_b32_e64 v8, 0, 1, vcc_lo
	v_fma_f16 v3, v60, v15, -v3
	v_or_b32_e32 v4, 0x1000, v6
	v_med3_i32 v1, v1, 0, 13
	v_and_or_b32 v8, 0xffe, v12, v8
	v_sub_nc_u32_e32 v12, 0x3f1, v16
	v_cvt_f32_f16_e32 v15, v3
	v_lshrrev_b32_e32 v10, v1, v4
	v_or_b32_e32 v18, 0x1000, v8
	v_med3_i32 v14, v12, 0, 13
	v_lshlrev_b32_e32 v1, v1, v10
	v_lshrrev_b32_e32 v19, v14, v18
	v_cmp_ne_u32_e32 vcc_lo, v1, v4
	v_cvt_f32_f16_e32 v4, v13
	v_mad_u64_u32 v[12:13], null, s10, v36, 0
	v_lshlrev_b32_e32 v20, v14, v19
	v_cndmask_b32_e64 v1, 0, 1, vcc_lo
	v_cmp_gt_i32_e32 vcc_lo, 1, v17
	v_cvt_f64_f32_e32 v[4:5], v4
	v_or_b32_e32 v1, v10, v1
	v_lshl_or_b32 v10, v17, 12, v6
	v_cndmask_b32_e32 v10, v10, v1, vcc_lo
	v_mov_b32_e32 v1, v13
	v_cmp_ne_u32_e32 vcc_lo, v20, v18
	v_add_nc_u32_e32 v18, 0xfffffc10, v16
	v_and_b32_e32 v21, 7, v10
	v_mad_u64_u32 v[13:14], null, s11, v36, v[1:2]
	v_cndmask_b32_e64 v1, 0, 1, vcc_lo
	v_lshl_or_b32 v14, v18, 12, v8
	v_cmp_gt_i32_e64 s1, 1, v18
	v_cmp_lt_i32_e32 vcc_lo, 5, v21
	v_cmp_eq_u32_e64 s0, 3, v21
	v_or_b32_e32 v1, v19, v1
	v_lshrrev_b32_e32 v10, 2, v10
	v_mul_f64 v[3:4], v[4:5], s[2:3]
	s_or_b32 vcc_lo, s0, vcc_lo
	v_cndmask_b32_e64 v1, v14, v1, s1
	v_add_co_ci_u32_e32 v10, vcc_lo, 0, v10, vcc_lo
	v_cmp_ne_u32_e32 vcc_lo, 0, v6
	v_cvt_f64_f32_e32 v[14:15], v15
	v_and_b32_e32 v16, 7, v1
	v_lshrrev_b32_e32 v1, 2, v1
	ds_read2st64_b32 v[5:6], v44 offset0:48 offset1:56
	v_cndmask_b32_e64 v19, 0, 1, vcc_lo
	v_cmp_gt_i32_e64 s1, 31, v17
	v_cmp_lt_i32_e32 vcc_lo, 5, v16
	v_cmp_eq_u32_e64 s0, 3, v16
	v_lshl_or_b32 v16, v19, 9, 0x7c00
	v_cndmask_b32_e64 v10, 0x7c00, v10, s1
	s_or_b32 vcc_lo, s0, vcc_lo
	v_add_co_ci_u32_e32 v1, vcc_lo, 0, v1, vcc_lo
	v_cmp_ne_u32_e32 vcc_lo, 0, v8
	v_and_or_b32 v3, 0x1ff, v4, v3
	v_bfe_u32 v21, v4, 20, 11
	v_lshrrev_b32_e32 v20, 8, v4
	v_cndmask_b32_e64 v8, 0, 1, vcc_lo
	v_cmp_eq_u32_e32 vcc_lo, 0x40f, v17
	v_mul_f64 v[14:15], v[14:15], s[2:3]
	s_waitcnt lgkmcnt(0)
	v_lshrrev_b32_e32 v19, 16, v5
	v_lshl_or_b32 v8, v8, 9, 0x7c00
	v_cndmask_b32_e32 v10, v10, v16, vcc_lo
	v_cmp_gt_i32_e32 vcc_lo, 31, v18
	v_mul_f16_sdwa v22, v59, v19 dst_sel:DWORD dst_unused:UNUSED_PAD src0_sel:WORD_1 src1_sel:DWORD
	v_mad_u64_u32 v[16:17], null, s8, v0, 0
	v_cndmask_b32_e32 v1, 0x7c00, v1, vcc_lo
	v_cmp_ne_u32_e32 vcc_lo, 0, v3
	v_fmac_f16_e32 v22, v59, v5
	v_mul_f16_sdwa v5, v59, v5 dst_sel:DWORD dst_unused:UNUSED_PAD src0_sel:WORD_1 src1_sel:DWORD
	v_cndmask_b32_e64 v3, 0, 1, vcc_lo
	v_cmp_eq_u32_e32 vcc_lo, 0x40f, v18
	v_fma_f16 v5, v59, v19, -v5
	v_and_or_b32 v3, 0xffe, v20, v3
	v_cndmask_b32_e32 v18, v1, v8, vcc_lo
	v_sub_nc_u32_e32 v8, 0x3f1, v21
	v_mov_b32_e32 v1, v17
	v_and_or_b32 v14, 0x1ff, v15, v14
	v_or_b32_e32 v20, 0x1000, v3
	v_and_or_b32 v9, 0x8000, v9, v18
	v_med3_i32 v17, v8, 0, 13
	v_cvt_f32_f16_e32 v8, v22
	v_mad_u64_u32 v[0:1], null, s9, v0, v[1:2]
	v_and_or_b32 v1, 0x8000, v7, v10
	v_cmp_ne_u32_e32 vcc_lo, 0, v14
	v_cvt_f64_f32_e32 v[7:8], v8
	v_lshrrev_b32_e32 v23, v17, v20
	v_lshrrev_b32_e32 v14, 8, v15
	v_bfe_u32 v22, v15, 20, 11
	v_cndmask_b32_e64 v10, 0, 1, vcc_lo
	v_and_b32_e32 v1, 0xffff, v1
	v_lshlrev_b32_e32 v18, v17, v23
	v_mov_b32_e32 v17, v0
	v_cvt_f32_f16_e32 v5, v5
	v_and_or_b32 v14, 0xffe, v14, v10
	v_sub_nc_u32_e32 v10, 0x3f1, v22
	v_cmp_ne_u32_e32 vcc_lo, v18, v20
	v_add_nc_u32_e32 v20, 0xfffffc10, v21
	v_lshl_or_b32 v24, v9, 16, v1
	v_or_b32_e32 v25, 0x1000, v14
	v_med3_i32 v26, v10, 0, 13
	v_cndmask_b32_e64 v18, 0, 1, vcc_lo
	v_lshlrev_b64 v[0:1], 2, v[12:13]
	v_lshlrev_b64 v[9:10], 2, v[16:17]
	v_cmp_gt_i32_e32 vcc_lo, 1, v20
	v_lshrrev_b32_e32 v16, v26, v25
	v_or_b32_e32 v17, v23, v18
	v_mul_f64 v[12:13], v[7:8], s[2:3]
	v_lshl_or_b32 v18, v20, 12, v3
	v_add_nc_u32_e32 v21, 0xfffffc10, v22
	v_lshlrev_b32_e32 v7, v26, v16
	v_lshrrev_b32_e32 v23, 16, v4
	v_lshrrev_b32_e32 v15, 16, v15
	v_cndmask_b32_e32 v17, v18, v17, vcc_lo
	v_add_co_u32 v0, vcc_lo, s4, v0
	v_add_co_ci_u32_e32 v1, vcc_lo, s5, v1, vcc_lo
	v_cmp_ne_u32_e32 vcc_lo, v7, v25
	v_and_b32_e32 v18, 7, v17
	v_cvt_f64_f32_e32 v[7:8], v5
	v_cmp_gt_i32_e64 s1, 1, v21
	s_mul_hi_u32 s4, s8, 0x1800
	v_cndmask_b32_e64 v19, 0, 1, vcc_lo
	v_add_co_u32 v9, vcc_lo, v0, v9
	v_add_co_ci_u32_e32 v10, vcc_lo, v1, v10, vcc_lo
	v_cmp_lt_i32_e32 vcc_lo, 5, v18
	v_cmp_eq_u32_e64 s0, 3, v18
	v_and_or_b32 v5, 0x1ff, v13, v12
	v_lshrrev_b32_e32 v12, 2, v17
	v_or_b32_e32 v0, v16, v19
	v_lshl_or_b32 v1, v21, 12, v14
	s_or_b32 vcc_lo, s0, vcc_lo
	v_lshrrev_b32_e32 v22, 8, v13
	v_add_co_ci_u32_e32 v12, vcc_lo, 0, v12, vcc_lo
	v_cmp_ne_u32_e32 vcc_lo, 0, v3
	v_cndmask_b32_e64 v18, v1, v0, s1
	ds_read2st64_b32 v[0:1], v44 offset0:64 offset1:72
	global_store_dword v[9:10], v24, off
	v_mul_f64 v[16:17], v[7:8], s[2:3]
	v_cndmask_b32_e64 v3, 0, 1, vcc_lo
	v_cmp_ne_u32_e32 vcc_lo, 0, v5
	v_and_b32_e32 v19, 7, v18
	v_lshrrev_b32_e32 v18, 2, v18
	v_bfe_u32 v7, v13, 20, 11
	v_lshl_or_b32 v3, v3, 9, 0x7c00
	v_cndmask_b32_e64 v5, 0, 1, vcc_lo
	v_cmp_gt_i32_e32 vcc_lo, 31, v20
	v_cmp_eq_u32_e64 s0, 3, v19
	v_lshrrev_b32_e32 v13, 16, v13
	s_mul_i32 s5, s8, 0x1800
	v_cndmask_b32_e32 v8, 0x7c00, v12, vcc_lo
	v_cmp_lt_i32_e32 vcc_lo, 5, v19
	v_and_or_b32 v12, 0xffe, v22, v5
	v_sub_nc_u32_e32 v5, 0x3f1, v7
	s_waitcnt lgkmcnt(0)
	v_lshrrev_b32_e32 v22, 16, v1
	s_or_b32 vcc_lo, s0, vcc_lo
	v_or_b32_e32 v19, 0x1000, v12
	v_add_co_ci_u32_e32 v18, vcc_lo, 0, v18, vcc_lo
	v_cmp_eq_u32_e32 vcc_lo, 0x40f, v20
	v_mul_f16_sdwa v20, v58, v22 dst_sel:DWORD dst_unused:UNUSED_PAD src0_sel:WORD_1 src1_sel:DWORD
	v_med3_i32 v5, v5, 0, 13
	v_and_or_b32 v16, 0x1ff, v17, v16
	s_mul_i32 s0, s9, 0x1800
	v_cndmask_b32_e32 v8, v8, v3, vcc_lo
	v_cmp_ne_u32_e32 vcc_lo, 0, v14
	v_fmac_f16_e32 v20, v58, v1
	v_lshrrev_b32_e32 v14, v5, v19
	v_mul_f16_sdwa v1, v58, v1 dst_sel:DWORD dst_unused:UNUSED_PAD src0_sel:WORD_1 src1_sel:DWORD
	v_and_or_b32 v8, 0x8000, v23, v8
	v_cndmask_b32_e64 v3, 0, 1, vcc_lo
	v_cmp_gt_i32_e32 vcc_lo, 31, v21
	v_lshlrev_b32_e32 v5, v5, v14
	v_fma_f16 v1, v58, v22, -v1
	s_add_i32 s4, s4, s0
	v_lshl_or_b32 v3, v3, 9, 0x7c00
	v_cndmask_b32_e32 v18, 0x7c00, v18, vcc_lo
	v_cmp_eq_u32_e32 vcc_lo, 0x40f, v21
	v_bfe_u32 v21, v17, 20, 11
	v_cvt_f32_f16_e32 v1, v1
	v_and_b32_e32 v8, 0xffff, v8
	v_cndmask_b32_e32 v18, v18, v3, vcc_lo
	v_cvt_f32_f16_e32 v3, v20
	v_cmp_ne_u32_e32 vcc_lo, 0, v16
	v_lshrrev_b32_e32 v20, 8, v17
	v_lshrrev_b32_e32 v17, 16, v17
	v_and_or_b32 v18, 0x8000, v15, v18
	v_cvt_f64_f32_e32 v[3:4], v3
	v_cndmask_b32_e64 v16, 0, 1, vcc_lo
	v_cmp_ne_u32_e32 vcc_lo, v5, v19
	v_add_nc_u32_e32 v19, 0xfffffc10, v7
	v_sub_nc_u32_e32 v7, 0x3f1, v21
	v_and_or_b32 v16, 0xffe, v20, v16
	v_cndmask_b32_e64 v5, 0, 1, vcc_lo
	v_cmp_gt_i32_e32 vcc_lo, 1, v19
	v_med3_i32 v7, v7, 0, 13
	v_or_b32_e32 v20, 0x1000, v16
	v_or_b32_e32 v5, v14, v5
	v_lshl_or_b32 v14, v19, 12, v12
	v_lshrrev_b32_e32 v23, v7, v20
	v_cndmask_b32_e32 v24, v14, v5, vcc_lo
	v_cvt_f64_f32_e32 v[14:15], v1
	v_lshl_or_b32 v1, v18, 16, v8
	v_lshlrev_b32_e32 v7, v7, v23
	v_mul_f64 v[4:5], v[3:4], s[2:3]
	v_and_b32_e32 v3, 7, v24
	v_cmp_ne_u32_e32 vcc_lo, v7, v20
	v_add_nc_u32_e32 v20, 0xfffffc10, v21
	v_cmp_eq_u32_e64 s0, 3, v3
	v_cndmask_b32_e64 v7, 0, 1, vcc_lo
	v_cmp_lt_i32_e32 vcc_lo, 5, v3
	v_lshrrev_b32_e32 v3, 2, v24
	v_lshl_or_b32 v8, v20, 12, v16
	v_cmp_gt_i32_e64 s1, 1, v20
	v_or_b32_e32 v7, v23, v7
	s_or_b32 vcc_lo, s0, vcc_lo
	v_add_co_ci_u32_e32 v3, vcc_lo, 0, v3, vcc_lo
	v_cmp_ne_u32_e32 vcc_lo, 0, v12
	v_cndmask_b32_e64 v18, v8, v7, s1
	ds_read2st64_b32 v[7:8], v44 offset0:96 offset1:104
	v_and_or_b32 v4, 0x1ff, v5, v4
	v_mul_f64 v[14:15], v[14:15], s[2:3]
	v_cndmask_b32_e64 v12, 0, 1, vcc_lo
	v_cmp_gt_i32_e32 vcc_lo, 31, v19
	v_and_b32_e32 v21, 7, v18
	v_lshrrev_b32_e32 v18, 2, v18
	v_lshrrev_b32_e32 v22, 8, v5
	v_lshl_or_b32 v12, v12, 9, 0x7c00
	v_cndmask_b32_e32 v3, 0x7c00, v3, vcc_lo
	v_cmp_ne_u32_e32 vcc_lo, 0, v4
	v_cmp_eq_u32_e64 s0, 3, v21
	v_bfe_u32 v23, v5, 20, 11
	v_lshrrev_b32_e32 v5, 16, v5
	v_cndmask_b32_e64 v4, 0, 1, vcc_lo
	v_cmp_lt_i32_e32 vcc_lo, 5, v21
	v_and_or_b32 v21, 0xffe, v22, v4
	s_or_b32 vcc_lo, s0, vcc_lo
	s_waitcnt lgkmcnt(0)
	v_lshrrev_b32_e32 v22, 16, v7
	v_add_co_ci_u32_e32 v18, vcc_lo, 0, v18, vcc_lo
	v_cmp_eq_u32_e32 vcc_lo, 0x40f, v19
	v_sub_nc_u32_e32 v4, 0x3f1, v23
	v_mul_f16_sdwa v25, v57, v22 dst_sel:DWORD dst_unused:UNUSED_PAD src0_sel:WORD_1 src1_sel:DWORD
	v_or_b32_e32 v24, 0x1000, v21
	v_and_or_b32 v14, 0x1ff, v15, v14
	v_cndmask_b32_e32 v12, v3, v12, vcc_lo
	v_cmp_ne_u32_e32 vcc_lo, 0, v16
	v_med3_i32 v4, v4, 0, 13
	v_fmac_f16_e32 v25, v57, v7
	v_add_nc_u32_e32 v23, 0xfffffc10, v23
	v_and_or_b32 v12, 0x8000, v13, v12
	v_cndmask_b32_e64 v3, 0, 1, vcc_lo
	v_cmp_gt_i32_e32 vcc_lo, 31, v20
	v_lshrrev_b32_e32 v16, v4, v24
	v_cvt_f32_f16_e32 v19, v25
	v_mul_f16_sdwa v7, v57, v7 dst_sel:DWORD dst_unused:UNUSED_PAD src0_sel:WORD_1 src1_sel:DWORD
	v_lshl_or_b32 v3, v3, 9, 0x7c00
	v_cndmask_b32_e32 v18, 0x7c00, v18, vcc_lo
	v_cmp_eq_u32_e32 vcc_lo, 0x40f, v20
	v_lshlrev_b32_e32 v25, v4, v16
	v_bfe_u32 v20, v15, 20, 11
	v_cndmask_b32_e32 v18, v18, v3, vcc_lo
	v_cmp_ne_u32_e32 vcc_lo, 0, v14
	v_cvt_f64_f32_e32 v[3:4], v19
	v_lshrrev_b32_e32 v19, 8, v15
	v_lshrrev_b32_e32 v15, 16, v15
	v_and_or_b32 v17, 0x8000, v17, v18
	v_cndmask_b32_e64 v14, 0, 1, vcc_lo
	v_cmp_ne_u32_e32 vcc_lo, v25, v24
	v_and_or_b32 v14, 0xffe, v19, v14
	v_cndmask_b32_e64 v24, 0, 1, vcc_lo
	v_sub_nc_u32_e32 v19, 0x3f1, v20
	v_add_co_u32 v9, vcc_lo, v9, s5
	v_add_co_ci_u32_e32 v10, vcc_lo, s4, v10, vcc_lo
	v_or_b32_e32 v13, v16, v24
	v_or_b32_e32 v24, 0x1000, v14
	v_med3_i32 v19, v19, 0, 13
	v_lshl_or_b32 v16, v23, 12, v21
	v_cmp_gt_i32_e32 vcc_lo, 1, v23
	v_add_nc_u32_e32 v20, 0xfffffc10, v20
	global_store_dword v[9:10], v1, off
	v_lshrrev_b32_e32 v25, v19, v24
	v_cndmask_b32_e32 v18, v16, v13, vcc_lo
	v_and_b32_e32 v16, 0xffff, v12
	v_mul_f64 v[12:13], v[3:4], s[2:3]
	v_fma_f16 v3, v57, v22, -v7
	v_lshlrev_b32_e32 v7, v19, v25
	v_and_b32_e32 v4, 7, v18
	v_lshrrev_b32_e32 v18, 2, v18
	v_lshl_or_b32 v1, v17, 16, v16
	v_cvt_f32_f16_e32 v3, v3
	v_cmp_ne_u32_e64 s0, v7, v24
	v_cmp_lt_i32_e32 vcc_lo, 5, v4
	v_lshl_or_b32 v19, v20, 12, v14
	v_cvt_f64_f32_e32 v[16:17], v3
	v_cndmask_b32_e64 v7, 0, 1, s0
	v_cmp_eq_u32_e64 s0, 3, v4
	ds_read2st64_b32 v[3:4], v44 offset0:112 offset1:120
	v_or_b32_e32 v7, v25, v7
	s_or_b32 vcc_lo, s0, vcc_lo
	v_add_co_ci_u32_e32 v18, vcc_lo, 0, v18, vcc_lo
	v_cmp_ne_u32_e32 vcc_lo, 0, v21
	v_and_or_b32 v12, 0x1ff, v13, v12
	v_lshrrev_b32_e32 v22, 8, v13
	v_bfe_u32 v24, v13, 20, 11
	v_cndmask_b32_e64 v21, 0, 1, vcc_lo
	v_cmp_gt_i32_e32 vcc_lo, 1, v20
	v_cndmask_b32_e32 v7, v19, v7, vcc_lo
	v_cmp_gt_i32_e32 vcc_lo, 31, v23
	v_lshl_or_b32 v19, v21, 9, 0x7c00
	v_mul_f64 v[16:17], v[16:17], s[2:3]
	v_and_b32_e32 v21, 7, v7
	v_cndmask_b32_e32 v18, 0x7c00, v18, vcc_lo
	v_cmp_ne_u32_e32 vcc_lo, 0, v12
	v_lshrrev_b32_e32 v7, 2, v7
	v_cmp_eq_u32_e64 s0, 3, v21
	v_cndmask_b32_e64 v12, 0, 1, vcc_lo
	v_cmp_eq_u32_e32 vcc_lo, 0x40f, v23
	v_and_or_b32 v12, 0xffe, v22, v12
	v_cndmask_b32_e32 v23, v18, v19, vcc_lo
	v_cmp_lt_i32_e32 vcc_lo, 5, v21
	s_waitcnt lgkmcnt(0)
	v_lshrrev_b32_e32 v22, 16, v4
	v_sub_nc_u32_e32 v18, 0x3f1, v24
	v_or_b32_e32 v21, 0x1000, v12
	v_and_or_b32 v5, 0x8000, v5, v23
	s_or_b32 vcc_lo, s0, vcc_lo
	v_mul_f16_sdwa v19, v56, v22 dst_sel:DWORD dst_unused:UNUSED_PAD src0_sel:WORD_1 src1_sel:DWORD
	v_add_co_ci_u32_e32 v7, vcc_lo, 0, v7, vcc_lo
	v_cmp_ne_u32_e32 vcc_lo, 0, v14
	v_med3_i32 v18, v18, 0, 13
	v_fmac_f16_e32 v19, v56, v4
	v_and_or_b32 v16, 0x1ff, v17, v16
	v_add_nc_u32_e32 v23, 0xfffffc10, v24
	v_cndmask_b32_e64 v14, 0, 1, vcc_lo
	v_cmp_gt_i32_e32 vcc_lo, 31, v20
	v_lshrrev_b32_e32 v25, v18, v21
	v_cvt_f32_f16_e32 v19, v19
	v_and_b32_e32 v5, 0xffff, v5
	v_lshl_or_b32 v14, v14, 9, 0x7c00
	v_cndmask_b32_e32 v7, 0x7c00, v7, vcc_lo
	v_add_co_u32 v9, vcc_lo, v9, s5
	v_add_co_ci_u32_e32 v10, vcc_lo, s4, v10, vcc_lo
	v_cmp_eq_u32_e32 vcc_lo, 0x40f, v20
	v_lshlrev_b32_e32 v26, v18, v25
	v_cvt_f64_f32_e32 v[18:19], v19
	v_bfe_u32 v20, v17, 20, 11
	v_mul_f16_sdwa v4, v56, v4 dst_sel:DWORD dst_unused:UNUSED_PAD src0_sel:WORD_1 src1_sel:DWORD
	v_cndmask_b32_e32 v7, v7, v14, vcc_lo
	v_cmp_ne_u32_e32 vcc_lo, 0, v16
	v_lshrrev_b32_e32 v16, 8, v17
	global_store_dword v[9:10], v1, off
	v_fma_f16 v4, v56, v22, -v4
	v_and_or_b32 v7, 0x8000, v15, v7
	v_cndmask_b32_e64 v14, 0, 1, vcc_lo
	v_cmp_ne_u32_e32 vcc_lo, v26, v21
	v_lshl_or_b32 v26, v23, 12, v12
	v_cvt_f32_f16_e32 v4, v4
	v_lshl_or_b32 v1, v7, 16, v5
	v_and_or_b32 v16, 0xffe, v16, v14
	v_cndmask_b32_e64 v21, 0, 1, vcc_lo
	v_sub_nc_u32_e32 v14, 0x3f1, v20
	v_cmp_gt_i32_e32 vcc_lo, 1, v23
	v_add_nc_u32_e32 v22, 0xfffffc10, v20
	v_or_b32_e32 v24, 0x1000, v16
	v_or_b32_e32 v21, v25, v21
	v_med3_i32 v25, v14, 0, 13
	v_mul_f64 v[14:15], v[18:19], s[2:3]
	v_cmp_eq_u32_e64 s1, 0x40f, v23
	v_lshrrev_b32_e32 v29, 16, v17
	v_cndmask_b32_e32 v21, v26, v21, vcc_lo
	v_lshrrev_b32_e32 v27, v25, v24
	v_add_co_u32 v18, vcc_lo, v9, s5
	v_add_co_ci_u32_e32 v19, vcc_lo, s4, v10, vcc_lo
	v_lshlrev_b32_e32 v5, v25, v27
	v_and_b32_e32 v7, 7, v21
	global_store_dword v[18:19], v1, off
	v_cmp_ne_u32_e32 vcc_lo, v5, v24
	v_cmp_eq_u32_e64 s0, 3, v7
	v_cvt_f64_f32_e32 v[4:5], v4
	v_cndmask_b32_e64 v9, 0, 1, vcc_lo
	v_cmp_lt_i32_e32 vcc_lo, 5, v7
	v_lshrrev_b32_e32 v7, 2, v21
	v_and_or_b32 v14, 0x1ff, v15, v14
	v_lshl_or_b32 v21, v22, 12, v16
	v_or_b32_e32 v20, v27, v9
	s_or_b32 vcc_lo, s0, vcc_lo
	ds_read2st64_b32 v[9:10], v44 offset0:144 offset1:152
	v_add_co_ci_u32_e32 v7, vcc_lo, 0, v7, vcc_lo
	v_cmp_gt_i32_e32 vcc_lo, 1, v22
	v_bfe_u32 v25, v15, 20, 11
	v_cndmask_b32_e32 v24, v21, v20, vcc_lo
	v_cmp_ne_u32_e32 vcc_lo, 0, v14
	v_lshrrev_b32_e32 v20, 8, v15
	v_and_b32_e32 v26, 7, v24
	v_cndmask_b32_e64 v14, 0, 1, vcc_lo
	v_cmp_ne_u32_e32 vcc_lo, 0, v12
	v_lshrrev_b32_e32 v24, 2, v24
	v_cmp_eq_u32_e64 s0, 3, v26
	v_and_or_b32 v14, 0xffe, v20, v14
	v_cndmask_b32_e64 v12, 0, 1, vcc_lo
	v_cmp_gt_i32_e32 vcc_lo, 31, v23
	v_mul_f64 v[20:21], v[4:5], s[2:3]
	v_sub_nc_u32_e32 v4, 0x3f1, v25
	s_waitcnt lgkmcnt(0)
	v_lshrrev_b32_e32 v27, 16, v9
	v_cndmask_b32_e32 v5, 0x7c00, v7, vcc_lo
	v_cmp_lt_i32_e32 vcc_lo, 5, v26
	v_lshl_or_b32 v7, v12, 9, 0x7c00
	v_or_b32_e32 v12, 0x1000, v14
	v_med3_i32 v4, v4, 0, 13
	v_lshrrev_b32_e32 v26, 16, v13
	s_or_b32 vcc_lo, s0, vcc_lo
	v_cndmask_b32_e64 v7, v5, v7, s1
	v_add_co_ci_u32_e32 v24, vcc_lo, 0, v24, vcc_lo
	v_lshrrev_b32_e32 v23, v4, v12
	v_cmp_ne_u32_e32 vcc_lo, 0, v16
	v_mul_f16_sdwa v5, v55, v27 dst_sel:DWORD dst_unused:UNUSED_PAD src0_sel:WORD_1 src1_sel:DWORD
	v_lshlrev_b32_e32 v4, v4, v23
	v_cndmask_b32_e64 v16, 0, 1, vcc_lo
	v_cmp_gt_i32_e32 vcc_lo, 31, v22
	v_fmac_f16_e32 v5, v55, v9
	v_and_or_b32 v13, 0x1ff, v21, v20
	v_bfe_u32 v28, v21, 20, 11
	v_lshl_or_b32 v16, v16, 9, 0x7c00
	v_cndmask_b32_e32 v20, 0x7c00, v24, vcc_lo
	v_cmp_ne_u32_e32 vcc_lo, v4, v12
	v_cvt_f32_f16_e32 v5, v5
	v_add_nc_u32_e32 v24, 0xfffffc10, v25
	v_lshrrev_b32_e32 v25, 8, v21
	v_mul_f16_sdwa v9, v55, v9 dst_sel:DWORD dst_unused:UNUSED_PAD src0_sel:WORD_1 src1_sel:DWORD
	v_cndmask_b32_e64 v12, 0, 1, vcc_lo
	v_cmp_ne_u32_e32 vcc_lo, 0, v13
	v_cvt_f64_f32_e32 v[4:5], v5
	v_lshrrev_b32_e32 v21, 16, v21
	v_fma_f16 v9, v55, v27, -v9
	v_or_b32_e32 v12, v23, v12
	v_cndmask_b32_e64 v13, 0, 1, vcc_lo
	v_cmp_eq_u32_e32 vcc_lo, 0x40f, v22
	v_lshl_or_b32 v23, v24, 12, v14
	v_cvt_f32_f16_e32 v9, v9
	v_and_or_b32 v25, 0xffe, v25, v13
	v_cndmask_b32_e32 v20, v20, v16, vcc_lo
	v_cmp_gt_i32_e32 vcc_lo, 1, v24
	v_sub_nc_u32_e32 v13, 0x3f1, v28
	v_cndmask_b32_e32 v22, v23, v12, vcc_lo
	v_or_b32_e32 v23, 0x1000, v25
	v_med3_i32 v27, v13, 0, 13
	v_and_b32_e32 v16, 7, v22
	v_mul_f64 v[12:13], v[4:5], s[2:3]
	v_lshrrev_b32_e32 v1, v27, v23
	v_lshrrev_b32_e32 v5, 2, v22
	v_and_or_b32 v4, 0x8000, v26, v7
	v_cmp_lt_i32_e32 vcc_lo, 5, v16
	v_cmp_eq_u32_e64 s0, 3, v16
	v_lshlrev_b32_e32 v7, v27, v1
	v_cvt_f64_f32_e32 v[16:17], v9
	v_and_or_b32 v9, 0x8000, v29, v20
	v_and_b32_e32 v22, 0xffff, v4
	s_or_b32 vcc_lo, s0, vcc_lo
	v_add_co_ci_u32_e32 v20, vcc_lo, 0, v5, vcc_lo
	v_cmp_ne_u32_e32 vcc_lo, v7, v23
	v_add_nc_u32_e32 v7, 0xfffffc10, v28
	v_lshl_or_b32 v9, v9, 16, v22
	v_cndmask_b32_e64 v5, 0, 1, vcc_lo
	v_cmp_ne_u32_e32 vcc_lo, 0, v14
	v_lshl_or_b32 v23, v7, 12, v25
	v_and_or_b32 v12, 0x1ff, v13, v12
	v_bfe_u32 v26, v13, 20, 11
	v_or_b32_e32 v1, v1, v5
	v_cndmask_b32_e64 v14, 0, 1, vcc_lo
	v_cmp_gt_i32_e32 vcc_lo, 31, v24
	ds_read2st64_b32 v[4:5], v44 offset0:160 offset1:168
	v_mul_f64 v[16:17], v[16:17], s[2:3]
	v_lshl_or_b32 v14, v14, 9, 0x7c00
	v_cndmask_b32_e32 v20, 0x7c00, v20, vcc_lo
	v_cmp_gt_i32_e32 vcc_lo, 1, v7
	v_cndmask_b32_e32 v1, v23, v1, vcc_lo
	v_cmp_ne_u32_e32 vcc_lo, 0, v12
	v_lshrrev_b32_e32 v23, 8, v13
	v_and_b32_e32 v22, 7, v1
	v_cndmask_b32_e64 v12, 0, 1, vcc_lo
	v_cmp_eq_u32_e32 vcc_lo, 0x40f, v24
	v_lshrrev_b32_e32 v1, 2, v1
	v_cmp_eq_u32_e64 s0, 3, v22
	v_and_or_b32 v12, 0xffe, v23, v12
	v_cndmask_b32_e32 v20, v20, v14, vcc_lo
	v_cmp_lt_i32_e32 vcc_lo, 5, v22
	v_sub_nc_u32_e32 v23, 0x3f1, v26
	s_waitcnt lgkmcnt(0)
	v_lshrrev_b32_e32 v24, 16, v5
	v_or_b32_e32 v27, 0x1000, v12
	v_lshrrev_b32_e32 v22, 16, v15
	s_or_b32 vcc_lo, s0, vcc_lo
	v_med3_i32 v14, v23, 0, 13
	v_mul_f16_sdwa v15, v54, v24 dst_sel:DWORD dst_unused:UNUSED_PAD src0_sel:WORD_1 src1_sel:DWORD
	v_add_co_ci_u32_e32 v1, vcc_lo, 0, v1, vcc_lo
	v_cmp_ne_u32_e32 vcc_lo, 0, v25
	v_lshrrev_b32_e32 v23, v14, v27
	v_fmac_f16_e32 v15, v54, v5
	v_and_or_b32 v16, 0x1ff, v17, v16
	v_add_nc_u32_e32 v26, 0xfffffc10, v26
	v_cndmask_b32_e64 v25, 0, 1, vcc_lo
	v_cmp_gt_i32_e32 vcc_lo, 31, v7
	v_lshlrev_b32_e32 v28, v14, v23
	v_cvt_f32_f16_e32 v14, v15
	v_lshrrev_b32_e32 v29, 8, v17
	v_bfe_u32 v30, v17, 20, 11
	v_cndmask_b32_e32 v1, 0x7c00, v1, vcc_lo
	v_cmp_ne_u32_e32 vcc_lo, 0, v16
	v_cvt_f64_f32_e32 v[14:15], v14
	v_mul_f16_sdwa v5, v54, v5 dst_sel:DWORD dst_unused:UNUSED_PAD src0_sel:WORD_1 src1_sel:DWORD
	v_lshl_or_b32 v25, v25, 9, 0x7c00
	v_and_or_b32 v22, 0x8000, v22, v20
	v_cndmask_b32_e64 v16, 0, 1, vcc_lo
	v_cmp_ne_u32_e32 vcc_lo, v28, v27
	v_sub_nc_u32_e32 v28, 0x3f1, v30
	v_fma_f16 v5, v54, v24, -v5
	v_lshrrev_b32_e32 v17, 16, v17
	v_and_or_b32 v16, 0xffe, v29, v16
	v_cndmask_b32_e64 v27, 0, 1, vcc_lo
	v_add_co_u32 v18, vcc_lo, v18, s5
	v_add_co_ci_u32_e32 v19, vcc_lo, s4, v19, vcc_lo
	v_or_b32_e32 v23, v23, v27
	v_lshl_or_b32 v27, v26, 12, v12
	v_cmp_gt_i32_e32 vcc_lo, 1, v26
	v_or_b32_e32 v29, 0x1000, v16
	v_med3_i32 v28, v28, 0, 13
	v_cvt_f32_f16_e32 v5, v5
	global_store_dword v[18:19], v9, off
	v_cndmask_b32_e32 v23, v27, v23, vcc_lo
	v_cmp_eq_u32_e32 vcc_lo, 0x40f, v7
	v_mul_f64 v[14:15], v[14:15], s[2:3]
	v_lshrrev_b32_e32 v7, v28, v29
	v_and_b32_e32 v24, 7, v23
	v_cndmask_b32_e32 v1, v1, v25, vcc_lo
	v_lshlrev_b32_e32 v25, v28, v7
	v_cmp_lt_i32_e32 vcc_lo, 5, v24
	v_cmp_eq_u32_e64 s0, 3, v24
	v_and_or_b32 v1, 0x8000, v21, v1
	v_cvt_f64_f32_e32 v[20:21], v5
	v_and_b32_e32 v5, 0xffff, v22
	v_lshrrev_b32_e32 v22, 2, v23
	s_or_b32 vcc_lo, s0, vcc_lo
	v_cmp_ne_u32_e64 s1, v25, v29
	v_add_nc_u32_e32 v24, 0xfffffc10, v30
	v_lshl_or_b32 v1, v1, 16, v5
	v_add_co_ci_u32_e32 v22, vcc_lo, 0, v22, vcc_lo
	v_cmp_ne_u32_e32 vcc_lo, 0, v12
	v_cndmask_b32_e64 v23, 0, 1, s1
	v_lshl_or_b32 v12, v24, 12, v16
	v_and_or_b32 v14, 0x1ff, v15, v14
	v_lshrrev_b32_e32 v25, 16, v11
	v_cndmask_b32_e64 v9, 0, 1, vcc_lo
	v_cmp_gt_i32_e32 vcc_lo, 31, v26
	v_or_b32_e32 v7, v7, v23
	v_bfe_u32 v23, v15, 20, 11
	v_lshl_or_b32 v9, v9, 9, 0x7c00
	v_cndmask_b32_e32 v22, 0x7c00, v22, vcc_lo
	v_cmp_gt_i32_e32 vcc_lo, 1, v24
	v_mul_f64 v[20:21], v[20:21], s[2:3]
	v_cndmask_b32_e32 v5, v12, v7, vcc_lo
	v_cmp_ne_u32_e32 vcc_lo, 0, v14
	v_lshrrev_b32_e32 v12, 8, v15
	v_and_b32_e32 v14, 7, v5
	v_cndmask_b32_e64 v7, 0, 1, vcc_lo
	v_cmp_eq_u32_e32 vcc_lo, 0x40f, v26
	v_lshrrev_b32_e32 v5, 2, v5
	v_cmp_eq_u32_e64 s0, 3, v14
	v_and_or_b32 v7, 0xffe, v12, v7
	v_cndmask_b32_e32 v9, v22, v9, vcc_lo
	v_cmp_lt_i32_e32 vcc_lo, 5, v14
	v_sub_nc_u32_e32 v12, 0x3f1, v23
	v_lshrrev_b32_e32 v22, 16, v13
	v_or_b32_e32 v14, 0x1000, v7
	v_mul_f16_sdwa v13, v53, v25 dst_sel:DWORD dst_unused:UNUSED_PAD src0_sel:WORD_1 src1_sel:DWORD
	s_or_b32 vcc_lo, s0, vcc_lo
	v_med3_i32 v12, v12, 0, 13
	v_add_co_ci_u32_e32 v5, vcc_lo, 0, v5, vcc_lo
	v_cmp_ne_u32_e32 vcc_lo, 0, v16
	v_and_or_b32 v20, 0x1ff, v21, v20
	v_lshrrev_b32_e32 v26, v12, v14
	v_fmac_f16_e32 v13, v53, v11
	v_lshrrev_b32_e32 v28, 8, v21
	v_cndmask_b32_e64 v16, 0, 1, vcc_lo
	v_cmp_gt_i32_e32 vcc_lo, 31, v24
	v_lshlrev_b32_e32 v27, v12, v26
	v_cvt_f32_f16_e32 v12, v13
	v_bfe_u32 v29, v21, 20, 11
	v_lshl_or_b32 v16, v16, 9, 0x7c00
	v_cndmask_b32_e32 v5, 0x7c00, v5, vcc_lo
	v_cmp_ne_u32_e32 vcc_lo, 0, v20
	v_cvt_f64_f32_e32 v[12:13], v12
	v_add_nc_u32_e32 v23, 0xfffffc10, v23
	v_mul_f16_sdwa v11, v53, v11 dst_sel:DWORD dst_unused:UNUSED_PAD src0_sel:WORD_1 src1_sel:DWORD
	v_and_or_b32 v9, 0x8000, v22, v9
	v_cndmask_b32_e64 v20, 0, 1, vcc_lo
	v_cmp_ne_u32_e32 vcc_lo, v27, v14
	v_sub_nc_u32_e32 v27, 0x3f1, v29
	v_fma_f16 v11, v53, v25, -v11
	v_and_b32_e32 v9, 0xffff, v9
	v_and_or_b32 v20, 0xffe, v28, v20
	v_cndmask_b32_e64 v14, 0, 1, vcc_lo
	v_cmp_eq_u32_e32 vcc_lo, 0x40f, v24
	v_cvt_f32_f16_e32 v11, v11
	v_or_b32_e32 v24, 0x1000, v20
	v_or_b32_e32 v14, v26, v14
	v_cndmask_b32_e32 v5, v5, v16, vcc_lo
	v_med3_i32 v16, v27, 0, 13
	v_lshl_or_b32 v26, v23, 12, v7
	v_cmp_gt_i32_e32 vcc_lo, 1, v23
	v_and_or_b32 v5, 0x8000, v17, v5
	v_lshrrev_b32_e32 v25, v16, v24
	v_mul_f64 v[12:13], v[12:13], s[2:3]
	v_cndmask_b32_e32 v14, v26, v14, vcc_lo
	v_add_co_u32 v18, vcc_lo, v18, s5
	v_lshlrev_b32_e32 v22, v16, v25
	v_add_co_ci_u32_e32 v19, vcc_lo, s4, v19, vcc_lo
	v_and_b32_e32 v26, 7, v14
	v_cvt_f64_f32_e32 v[16:17], v11
	v_cmp_ne_u32_e64 s0, v22, v24
	v_lshl_or_b32 v5, v5, 16, v9
	v_lshrrev_b32_e32 v9, 2, v14
	v_cmp_lt_i32_e32 vcc_lo, 5, v26
	v_add_nc_u32_e32 v22, 0xfffffc10, v29
	v_cndmask_b32_e64 v11, 0, 1, s0
	v_cmp_eq_u32_e64 s0, 3, v26
	v_lshl_or_b32 v14, v22, 12, v20
	v_or_b32_e32 v11, v25, v11
	s_or_b32 vcc_lo, s0, vcc_lo
	v_add_co_ci_u32_e32 v9, vcc_lo, 0, v9, vcc_lo
	v_cmp_ne_u32_e32 vcc_lo, 0, v7
	v_and_or_b32 v24, 0x1ff, v13, v12
	v_lshrrev_b32_e32 v26, 8, v13
	v_bfe_u32 v27, v13, 20, 11
	v_lshrrev_b32_e32 v13, 16, v13
	v_cndmask_b32_e64 v7, 0, 1, vcc_lo
	v_cmp_gt_i32_e32 vcc_lo, 1, v22
	v_mul_f64 v[16:17], v[16:17], s[2:3]
	v_lshl_or_b32 v7, v7, 9, 0x7c00
	v_cndmask_b32_e32 v14, v14, v11, vcc_lo
	v_cmp_gt_i32_e32 vcc_lo, 31, v23
	ds_read2st64_b32 v[11:12], v44 offset0:32 offset1:40
	v_and_b32_e32 v25, 7, v14
	v_cndmask_b32_e32 v9, 0x7c00, v9, vcc_lo
	v_cmp_ne_u32_e32 vcc_lo, 0, v24
	v_cmp_eq_u32_e64 s0, 3, v25
	v_cndmask_b32_e64 v24, 0, 1, vcc_lo
	v_cmp_eq_u32_e32 vcc_lo, 0x40f, v23
	v_and_or_b32 v23, 0xffe, v26, v24
	v_cndmask_b32_e32 v7, v9, v7, vcc_lo
	v_lshrrev_b32_e32 v9, 16, v15
	v_cmp_lt_i32_e32 vcc_lo, 5, v25
	v_sub_nc_u32_e32 v15, 0x3f1, v27
	s_waitcnt lgkmcnt(0)
	v_lshrrev_b32_e32 v25, 16, v11
	v_or_b32_e32 v24, 0x1000, v23
	v_and_or_b32 v7, 0x8000, v9, v7
	v_lshrrev_b32_e32 v9, 2, v14
	s_or_b32 vcc_lo, s0, vcc_lo
	v_med3_i32 v14, v15, 0, 13
	v_and_or_b32 v15, 0x1ff, v17, v16
	v_mul_f16_sdwa v16, v52, v25 dst_sel:DWORD dst_unused:UNUSED_PAD src0_sel:WORD_1 src1_sel:DWORD
	v_add_co_ci_u32_e32 v9, vcc_lo, 0, v9, vcc_lo
	v_cmp_ne_u32_e32 vcc_lo, 0, v20
	v_lshrrev_b32_e32 v26, v14, v24
	v_fmac_f16_e32 v16, v52, v11
	v_lshrrev_b32_e32 v28, 8, v17
	v_bfe_u32 v29, v17, 20, 11
	v_cndmask_b32_e64 v20, 0, 1, vcc_lo
	v_cmp_gt_i32_e32 vcc_lo, 31, v22
	v_lshlrev_b32_e32 v30, v14, v26
	v_cvt_f32_f16_e32 v16, v16
	v_sub_nc_u32_e32 v31, 0x3f1, v29
	v_lshl_or_b32 v20, v20, 9, 0x7c00
	v_cndmask_b32_e32 v9, 0x7c00, v9, vcc_lo
	v_cmp_ne_u32_e32 vcc_lo, 0, v15
	v_add_nc_u32_e32 v27, 0xfffffc10, v27
	v_mul_f16_sdwa v11, v52, v11 dst_sel:DWORD dst_unused:UNUSED_PAD src0_sel:WORD_1 src1_sel:DWORD
	v_and_b32_e32 v7, 0xffff, v7
	v_lshrrev_b32_e32 v17, 16, v17
	v_cndmask_b32_e64 v15, 0, 1, vcc_lo
	v_cmp_ne_u32_e32 vcc_lo, v30, v24
	v_med3_i32 v30, v31, 0, 13
	v_lshl_or_b32 v31, v27, 12, v23
	v_and_or_b32 v28, 0xffe, v28, v15
	v_cvt_f64_f32_e32 v[14:15], v16
	v_cndmask_b32_e64 v16, 0, 1, vcc_lo
	v_cmp_eq_u32_e32 vcc_lo, 0x40f, v22
	v_lshrrev_b32_e32 v22, 16, v21
	v_or_b32_e32 v24, 0x1000, v28
	v_or_b32_e32 v16, v26, v16
	v_cndmask_b32_e32 v9, v9, v20, vcc_lo
	v_add_co_u32 v20, vcc_lo, v18, s5
	v_add_co_ci_u32_e32 v21, vcc_lo, s4, v19, vcc_lo
	v_lshrrev_b32_e32 v26, v30, v24
	v_cmp_gt_i32_e32 vcc_lo, 1, v27
	global_store_dword v[18:19], v1, off
	global_store_dword v[20:21], v5, off
	v_fma_f16 v5, v52, v25, -v11
	v_and_or_b32 v9, 0x8000, v22, v9
	v_lshlrev_b32_e32 v30, v30, v26
	v_cndmask_b32_e32 v16, v31, v16, vcc_lo
	v_add_nc_u32_e32 v22, 0xfffffc10, v29
	v_cvt_f32_f16_e32 v5, v5
	v_lshl_or_b32 v7, v9, 16, v7
	v_cmp_ne_u32_e32 vcc_lo, v30, v24
	v_and_b32_e32 v1, 7, v16
	v_mul_f64 v[14:15], v[14:15], s[2:3]
	v_cvt_f64_f32_e32 v[18:19], v5
	v_cmp_gt_i32_e64 s1, 1, v22
	v_cndmask_b32_e64 v11, 0, 1, vcc_lo
	v_cmp_lt_i32_e32 vcc_lo, 5, v1
	v_cmp_eq_u32_e64 s0, 3, v1
	v_lshrrev_b32_e32 v1, 2, v16
	v_or_b32_e32 v9, v26, v11
	v_lshl_or_b32 v11, v22, 12, v28
	s_or_b32 vcc_lo, s0, vcc_lo
	v_add_co_ci_u32_e32 v1, vcc_lo, 0, v1, vcc_lo
	v_cmp_ne_u32_e32 vcc_lo, 0, v23
	v_cndmask_b32_e64 v5, v11, v9, s1
	v_lshrrev_b32_e32 v23, 16, v6
	v_cndmask_b32_e64 v9, 0, 1, vcc_lo
	v_add_co_u32 v20, vcc_lo, v20, s5
	v_add_co_ci_u32_e32 v21, vcc_lo, s4, v21, vcc_lo
	v_and_b32_e32 v11, 7, v5
	v_cmp_gt_i32_e32 vcc_lo, 31, v27
	v_and_or_b32 v14, 0x1ff, v15, v14
	v_mul_f64 v[18:19], v[18:19], s[2:3]
	v_lshrrev_b32_e32 v5, 2, v5
	v_cmp_eq_u32_e64 s0, 3, v11
	v_cndmask_b32_e32 v1, 0x7c00, v1, vcc_lo
	v_cmp_lt_i32_e32 vcc_lo, 5, v11
	v_cmp_ne_u32_e64 s1, 0, v14
	v_lshrrev_b32_e32 v14, 8, v15
	v_bfe_u32 v16, v15, 20, 11
	v_lshl_or_b32 v9, v9, 9, 0x7c00
	s_or_b32 vcc_lo, s0, vcc_lo
	v_cndmask_b32_e64 v11, 0, 1, s1
	v_add_co_ci_u32_e32 v5, vcc_lo, 0, v5, vcc_lo
	v_cmp_ne_u32_e32 vcc_lo, 0, v28
	v_mul_f16_sdwa v26, v51, v23 dst_sel:DWORD dst_unused:UNUSED_PAD src0_sel:WORD_1 src1_sel:DWORD
	v_and_or_b32 v11, 0xffe, v14, v11
	v_sub_nc_u32_e32 v14, 0x3f1, v16
	global_store_dword v[20:21], v7, off
	v_cndmask_b32_e64 v25, 0, 1, vcc_lo
	v_cmp_eq_u32_e32 vcc_lo, 0x40f, v27
	v_or_b32_e32 v24, 0x1000, v11
	v_med3_i32 v14, v14, 0, 13
	v_fmac_f16_e32 v26, v51, v6
	v_lshl_or_b32 v25, v25, 9, 0x7c00
	v_cndmask_b32_e32 v1, v1, v9, vcc_lo
	v_cmp_gt_i32_e32 vcc_lo, 31, v22
	v_lshrrev_b32_e32 v9, v14, v24
	v_and_or_b32 v18, 0x1ff, v19, v18
	v_mul_f16_sdwa v6, v51, v6 dst_sel:DWORD dst_unused:UNUSED_PAD src0_sel:WORD_1 src1_sel:DWORD
	v_and_or_b32 v1, 0x8000, v13, v1
	v_cndmask_b32_e32 v5, 0x7c00, v5, vcc_lo
	v_cmp_eq_u32_e32 vcc_lo, 0x40f, v22
	v_lshlrev_b32_e32 v27, v14, v9
	v_cvt_f32_f16_e32 v14, v26
	v_lshrrev_b32_e32 v22, 8, v19
	v_add_nc_u32_e32 v26, 0xfffffc10, v16
	v_cndmask_b32_e32 v5, v5, v25, vcc_lo
	v_cmp_ne_u32_e32 vcc_lo, 0, v18
	v_cvt_f64_f32_e32 v[13:14], v14
	v_bfe_u32 v25, v19, 20, 11
	v_fma_f16 v6, v51, v23, -v6
	v_and_or_b32 v5, 0x8000, v17, v5
	v_cndmask_b32_e64 v18, 0, 1, vcc_lo
	v_cmp_ne_u32_e32 vcc_lo, v27, v24
	v_sub_nc_u32_e32 v16, 0x3f1, v25
	v_lshl_or_b32 v17, v26, 12, v11
	v_cvt_f32_f16_e32 v6, v6
	v_and_or_b32 v18, 0xffe, v22, v18
	v_cndmask_b32_e64 v24, 0, 1, vcc_lo
	v_cmp_gt_i32_e32 vcc_lo, 1, v26
	v_med3_i32 v23, v16, 0, 13
	v_and_b32_e32 v1, 0xffff, v1
	v_or_b32_e32 v22, 0x1000, v18
	v_or_b32_e32 v9, v9, v24
	s_mul_i32 s1, s9, 0xffff6000
	v_add_nc_u32_e32 v24, 0xfffffc10, v25
	v_lshl_or_b32 v1, v5, 16, v1
	v_lshrrev_b32_e32 v7, v23, v22
	v_cndmask_b32_e32 v9, v17, v9, vcc_lo
	v_cvt_f64_f32_e32 v[16:17], v6
	v_mul_f64 v[13:14], v[13:14], s[2:3]
	s_sub_i32 s6, s1, s8
	v_lshlrev_b32_e32 v23, v23, v7
	v_and_b32_e32 v5, 7, v9
	v_lshrrev_b32_e32 v9, 2, v9
	v_mad_u64_u32 v[20:21], null, 0xffff6000, s8, v[20:21]
	v_cmp_ne_u32_e64 s1, v23, v22
	v_cmp_lt_i32_e32 vcc_lo, 5, v5
	v_cmp_eq_u32_e64 s0, 3, v5
	ds_read2st64_b32 v[5:6], v44 offset0:80 offset1:88
	v_lshrrev_b32_e32 v15, 16, v15
	v_cndmask_b32_e64 v22, 0, 1, s1
	v_add_nc_u32_e32 v21, s6, v21
	s_or_b32 vcc_lo, s0, vcc_lo
	v_add_co_ci_u32_e32 v9, vcc_lo, 0, v9, vcc_lo
	v_cmp_ne_u32_e32 vcc_lo, 0, v11
	v_or_b32_e32 v7, v7, v22
	v_lshl_or_b32 v22, v24, 12, v18
	v_mul_f64 v[16:17], v[16:17], s[2:3]
	v_and_or_b32 v13, 0x1ff, v14, v13
	v_cndmask_b32_e64 v11, 0, 1, vcc_lo
	v_cmp_gt_i32_e32 vcc_lo, 1, v24
	v_bfe_u32 v27, v14, 20, 11
	global_store_dword v[20:21], v1, off
	v_lshl_or_b32 v11, v11, 9, 0x7c00
	v_cndmask_b32_e32 v7, v22, v7, vcc_lo
	v_cmp_gt_i32_e32 vcc_lo, 31, v26
	s_waitcnt lgkmcnt(0)
	v_lshrrev_b32_e32 v25, 16, v5
	v_lshrrev_b32_e32 v22, 8, v14
	v_and_b32_e32 v28, 7, v7
	v_cndmask_b32_e32 v9, 0x7c00, v9, vcc_lo
	v_cmp_ne_u32_e32 vcc_lo, 0, v13
	v_mul_f16_sdwa v23, v50, v25 dst_sel:DWORD dst_unused:UNUSED_PAD src0_sel:WORD_1 src1_sel:DWORD
	v_lshrrev_b32_e32 v7, 2, v7
	v_cmp_eq_u32_e64 s0, 3, v28
	v_cndmask_b32_e64 v13, 0, 1, vcc_lo
	v_fmac_f16_e32 v23, v50, v5
	v_cmp_eq_u32_e32 vcc_lo, 0x40f, v26
	v_and_or_b32 v16, 0x1ff, v17, v16
	v_bfe_u32 v29, v17, 20, 11
	v_and_or_b32 v1, 0xffe, v22, v13
	v_sub_nc_u32_e32 v13, 0x3f1, v27
	v_cvt_f32_f16_e32 v22, v23
	v_cndmask_b32_e32 v9, v9, v11, vcc_lo
	v_cmp_lt_i32_e32 vcc_lo, 5, v28
	v_or_b32_e32 v11, 0x1000, v1
	v_med3_i32 v13, v13, 0, 13
	v_cvt_f64_f32_e32 v[22:23], v22
	v_cmp_ne_u32_e64 s1, 0, v16
	s_or_b32 vcc_lo, s0, vcc_lo
	v_lshrrev_b32_e32 v28, 8, v17
	v_lshrrev_b32_e32 v26, v13, v11
	v_add_co_ci_u32_e32 v7, vcc_lo, 0, v7, vcc_lo
	v_cndmask_b32_e64 v16, 0, 1, s1
	v_cmp_ne_u32_e32 vcc_lo, 0, v18
	v_lshlrev_b32_e32 v13, v13, v26
	v_mul_f16_sdwa v5, v50, v5 dst_sel:DWORD dst_unused:UNUSED_PAD src0_sel:WORD_1 src1_sel:DWORD
	v_and_or_b32 v9, 0x8000, v15, v9
	v_and_or_b32 v28, 0xffe, v28, v16
	v_sub_nc_u32_e32 v16, 0x3f1, v29
	v_cndmask_b32_e64 v18, 0, 1, vcc_lo
	v_cmp_ne_u32_e32 vcc_lo, v13, v11
	v_add_nc_u32_e32 v13, 0xfffffc10, v27
	v_or_b32_e32 v27, 0x1000, v28
	v_med3_i32 v16, v16, 0, 13
	v_fma_f16 v5, v50, v25, -v5
	v_cndmask_b32_e64 v11, 0, 1, vcc_lo
	v_cmp_gt_i32_e32 vcc_lo, 31, v24
	v_mul_f64 v[22:23], v[22:23], s[2:3]
	v_lshrrev_b32_e32 v30, v16, v27
	v_lshl_or_b32 v18, v18, 9, 0x7c00
	v_or_b32_e32 v11, v26, v11
	v_cndmask_b32_e32 v7, 0x7c00, v7, vcc_lo
	v_lshl_or_b32 v26, v13, 12, v1
	v_cmp_gt_i32_e32 vcc_lo, 1, v13
	v_lshlrev_b32_e32 v25, v16, v30
	v_cvt_f32_f16_e32 v5, v5
	v_and_b32_e32 v9, 0xffff, v9
	v_cndmask_b32_e32 v11, v26, v11, vcc_lo
	v_cmp_eq_u32_e32 vcc_lo, 0x40f, v24
	v_cvt_f64_f32_e32 v[15:16], v5
	v_add_nc_u32_e32 v24, 0xfffffc10, v29
	v_lshrrev_b32_e32 v26, 16, v8
	v_cndmask_b32_e32 v7, v7, v18, vcc_lo
	v_lshrrev_b32_e32 v18, 16, v19
	v_and_b32_e32 v19, 7, v11
	v_cmp_ne_u32_e32 vcc_lo, v25, v27
	v_lshrrev_b32_e32 v11, 2, v11
	v_cmp_gt_i32_e64 s1, 1, v24
	v_and_or_b32 v7, 0x8000, v18, v7
	v_cmp_eq_u32_e64 s0, 3, v19
	v_cndmask_b32_e64 v5, 0, 1, vcc_lo
	v_cmp_lt_i32_e32 vcc_lo, 5, v19
	v_lshl_or_b32 v18, v24, 12, v28
	v_and_or_b32 v19, 0x1ff, v23, v22
	v_lshrrev_b32_e32 v22, 8, v23
	v_or_b32_e32 v5, v30, v5
	s_or_b32 vcc_lo, s0, vcc_lo
	v_bfe_u32 v25, v23, 20, 11
	v_add_co_ci_u32_e32 v11, vcc_lo, 0, v11, vcc_lo
	v_cmp_ne_u32_e32 vcc_lo, 0, v1
	v_cndmask_b32_e64 v5, v18, v5, s1
	v_mul_f64 v[15:16], v[15:16], s[2:3]
	v_lshl_or_b32 v9, v7, 16, v9
	v_lshrrev_b32_e32 v23, 16, v23
	v_cndmask_b32_e64 v1, 0, 1, vcc_lo
	v_cmp_ne_u32_e32 vcc_lo, 0, v19
	v_and_b32_e32 v18, 7, v5
	v_lshrrev_b32_e32 v5, 2, v5
	v_lshl_or_b32 v1, v1, 9, 0x7c00
	v_cndmask_b32_e64 v19, 0, 1, vcc_lo
	v_cmp_gt_i32_e32 vcc_lo, 31, v13
	v_cmp_eq_u32_e64 s0, 3, v18
	v_and_or_b32 v22, 0xffe, v22, v19
	v_cndmask_b32_e32 v11, 0x7c00, v11, vcc_lo
	v_cmp_lt_i32_e32 vcc_lo, 5, v18
	v_sub_nc_u32_e32 v19, 0x3f1, v25
	v_add_nc_u32_e32 v25, 0xfffffc10, v25
	v_or_b32_e32 v18, 0x1000, v22
	s_or_b32 vcc_lo, s0, vcc_lo
	v_med3_i32 v19, v19, 0, 13
	v_add_co_ci_u32_e32 v5, vcc_lo, 0, v5, vcc_lo
	v_cmp_eq_u32_e32 vcc_lo, 0x40f, v13
	v_lshrrev_b32_e32 v13, 16, v14
	v_lshrrev_b32_e32 v14, v19, v18
	v_and_or_b32 v15, 0x1ff, v16, v15
	v_bfe_u32 v27, v16, 20, 11
	v_cndmask_b32_e32 v1, v11, v1, vcc_lo
	v_cmp_ne_u32_e32 vcc_lo, 0, v28
	v_lshlrev_b32_e32 v7, v19, v14
	v_lshrrev_b32_e32 v19, 8, v16
	v_lshl_or_b32 v28, v25, 12, v22
	v_and_or_b32 v1, 0x8000, v13, v1
	v_cndmask_b32_e64 v11, 0, 1, vcc_lo
	v_cmp_gt_i32_e32 vcc_lo, 31, v24
	v_mul_f16_sdwa v13, v49, v26 dst_sel:DWORD dst_unused:UNUSED_PAD src0_sel:WORD_1 src1_sel:DWORD
	v_and_b32_e32 v1, 0xffff, v1
	v_lshl_or_b32 v11, v11, 9, 0x7c00
	v_cndmask_b32_e32 v5, 0x7c00, v5, vcc_lo
	v_cmp_ne_u32_e32 vcc_lo, 0, v15
	v_fmac_f16_e32 v13, v49, v8
	v_mul_f16_sdwa v8, v49, v8 dst_sel:DWORD dst_unused:UNUSED_PAD src0_sel:WORD_1 src1_sel:DWORD
	v_cndmask_b32_e64 v15, 0, 1, vcc_lo
	v_cmp_ne_u32_e32 vcc_lo, v7, v18
	v_cvt_f32_f16_e32 v13, v13
	v_sub_nc_u32_e32 v18, 0x3f1, v27
	v_fma_f16 v8, v49, v26, -v8
	v_and_or_b32 v15, 0xffe, v19, v15
	v_cndmask_b32_e64 v7, 0, 1, vcc_lo
	v_cmp_eq_u32_e32 vcc_lo, 0x40f, v24
	v_med3_i32 v18, v18, 0, 13
	v_lshrrev_b32_e32 v24, 16, v17
	v_or_b32_e32 v19, 0x1000, v15
	v_or_b32_e32 v7, v14, v7
	v_cvt_f64_f32_e32 v[13:14], v13
	v_cndmask_b32_e32 v5, v5, v11, vcc_lo
	v_cmp_gt_i32_e32 vcc_lo, 1, v25
	v_lshrrev_b32_e32 v11, v18, v19
	v_cvt_f32_f16_e32 v8, v8
	v_add_nc_u32_e32 v26, 0xfffffc10, v27
	v_and_or_b32 v5, 0x8000, v24, v5
	v_cndmask_b32_e32 v7, v28, v7, vcc_lo
	v_lshlrev_b32_e32 v28, v18, v11
	v_add_co_u32 v17, vcc_lo, v20, s5
	v_add_co_ci_u32_e32 v18, vcc_lo, s4, v21, vcc_lo
	v_and_b32_e32 v21, 7, v7
	v_cmp_ne_u32_e32 vcc_lo, v28, v19
	v_cvt_f64_f32_e32 v[19:20], v8
	v_lshl_or_b32 v1, v5, 16, v1
	global_store_dword v[17:18], v9, off
	v_cmp_eq_u32_e64 s0, 3, v21
	v_cndmask_b32_e64 v24, 0, 1, vcc_lo
	v_cmp_lt_i32_e32 vcc_lo, 5, v21
	v_lshrrev_b32_e32 v21, 2, v7
	v_mul_f64 v[13:14], v[13:14], s[2:3]
	ds_read2st64_b32 v[7:8], v44 offset0:128 offset1:136
	v_or_b32_e32 v11, v11, v24
	s_or_b32 vcc_lo, s0, vcc_lo
	v_lshl_or_b32 v24, v26, 12, v15
	v_add_co_ci_u32_e32 v21, vcc_lo, 0, v21, vcc_lo
	v_cmp_ne_u32_e32 vcc_lo, 0, v22
	v_cndmask_b32_e64 v22, 0, 1, vcc_lo
	v_cmp_gt_i32_e32 vcc_lo, 1, v26
	v_mul_f64 v[19:20], v[19:20], s[2:3]
	v_lshl_or_b32 v9, v22, 9, 0x7c00
	v_cndmask_b32_e32 v11, v24, v11, vcc_lo
	v_cmp_gt_i32_e32 vcc_lo, 31, v25
	s_waitcnt lgkmcnt(0)
	v_lshrrev_b32_e32 v24, 16, v7
	v_and_or_b32 v13, 0x1ff, v14, v13
	v_bfe_u32 v27, v14, 20, 11
	v_cndmask_b32_e32 v5, 0x7c00, v21, vcc_lo
	v_and_b32_e32 v21, 7, v11
	v_add_co_u32 v17, vcc_lo, v17, s5
	v_cmp_ne_u32_e64 s1, 0, v13
	v_add_co_ci_u32_e32 v18, vcc_lo, s4, v18, vcc_lo
	v_cmp_lt_i32_e32 vcc_lo, 5, v21
	v_cmp_eq_u32_e64 s0, 3, v21
	v_cndmask_b32_e64 v13, 0, 1, s1
	v_cmp_eq_u32_e64 s1, 0x40f, v25
	v_mul_f16_sdwa v22, v48, v24 dst_sel:DWORD dst_unused:UNUSED_PAD src0_sel:WORD_1 src1_sel:DWORD
	v_lshrrev_b32_e32 v21, 8, v14
	s_or_b32 vcc_lo, s0, vcc_lo
	v_and_or_b32 v19, 0x1ff, v20, v19
	v_cndmask_b32_e64 v5, v5, v9, s1
	v_lshrrev_b32_e32 v9, 2, v11
	v_fmac_f16_e32 v22, v48, v7
	v_and_or_b32 v11, 0xffe, v21, v13
	v_sub_nc_u32_e32 v13, 0x3f1, v27
	v_lshrrev_b32_e32 v29, 8, v20
	v_add_co_ci_u32_e32 v9, vcc_lo, 0, v9, vcc_lo
	v_cmp_ne_u32_e32 vcc_lo, 0, v15
	v_cvt_f32_f16_e32 v21, v22
	v_or_b32_e32 v25, 0x1000, v11
	v_med3_i32 v13, v13, 0, 13
	v_bfe_u32 v30, v20, 20, 11
	v_cndmask_b32_e64 v15, 0, 1, vcc_lo
	v_cmp_gt_i32_e32 vcc_lo, 31, v26
	v_cvt_f64_f32_e32 v[21:22], v21
	v_lshrrev_b32_e32 v28, v13, v25
	v_mul_f16_sdwa v7, v48, v7 dst_sel:DWORD dst_unused:UNUSED_PAD src0_sel:WORD_1 src1_sel:DWORD
	v_lshl_or_b32 v15, v15, 9, 0x7c00
	v_cndmask_b32_e32 v9, 0x7c00, v9, vcc_lo
	v_cmp_ne_u32_e32 vcc_lo, 0, v19
	v_lshlrev_b32_e32 v13, v13, v28
	v_fma_f16 v7, v48, v24, -v7
	v_and_or_b32 v5, 0x8000, v23, v5
	global_store_dword v[17:18], v1, off
	v_cndmask_b32_e64 v19, 0, 1, vcc_lo
	v_cmp_eq_u32_e32 vcc_lo, 0x40f, v26
	v_lshrrev_b32_e32 v26, 16, v16
	v_cvt_f32_f16_e32 v7, v7
	v_and_b32_e32 v5, 0xffff, v5
	v_and_or_b32 v19, 0xffe, v29, v19
	v_sub_nc_u32_e32 v29, 0x3f1, v30
	v_cndmask_b32_e32 v9, v9, v15, vcc_lo
	v_cmp_ne_u32_e32 vcc_lo, v13, v25
	v_add_nc_u32_e32 v25, 0xfffffc10, v27
	v_or_b32_e32 v31, 0x1000, v19
	v_med3_i32 v29, v29, 0, 13
	v_mul_f64 v[15:16], v[21:22], s[2:3]
	v_cndmask_b32_e64 v13, 0, 1, vcc_lo
	v_lshl_or_b32 v21, v25, 12, v11
	v_cmp_gt_i32_e32 vcc_lo, 1, v25
	v_lshrrev_b32_e32 v27, v29, v31
	v_and_or_b32 v9, 0x8000, v26, v9
	v_or_b32_e32 v13, v28, v13
	v_add_nc_u32_e32 v26, 0xfffffc10, v30
	v_add_co_u32 v17, s1, v17, s5
	v_lshlrev_b32_e32 v23, v29, v27
	v_cndmask_b32_e32 v13, v21, v13, vcc_lo
	v_cvt_f64_f32_e32 v[21:22], v7
	v_add_co_ci_u32_e64 v18, s1, s4, v18, s1
	v_cmp_ne_u32_e32 vcc_lo, v23, v31
	v_and_b32_e32 v23, 7, v13
	v_lshl_or_b32 v1, v9, 16, v5
	v_lshrrev_b32_e32 v13, 2, v13
	v_cmp_gt_i32_e64 s1, 1, v26
	v_cndmask_b32_e64 v7, 0, 1, vcc_lo
	v_cmp_lt_i32_e32 vcc_lo, 5, v23
	v_cmp_eq_u32_e64 s0, 3, v23
	v_and_or_b32 v9, 0x1ff, v16, v15
	v_bfe_u32 v15, v16, 20, 11
	v_or_b32_e32 v5, v27, v7
	v_lshl_or_b32 v7, v26, 12, v19
	s_or_b32 vcc_lo, s0, vcc_lo
	v_lshrrev_b32_e32 v27, 16, v10
	global_store_dword v[17:18], v1, off
	v_lshrrev_b32_e32 v14, 16, v14
	v_cndmask_b32_e64 v5, v7, v5, s1
	v_add_co_ci_u32_e32 v7, vcc_lo, 0, v13, vcc_lo
	v_cmp_ne_u32_e32 vcc_lo, 0, v9
	v_mul_f64 v[21:22], v[21:22], s[2:3]
	v_lshrrev_b32_e32 v13, 8, v16
	v_and_b32_e32 v23, 7, v5
	v_lshrrev_b32_e32 v5, 2, v5
	v_cndmask_b32_e64 v9, 0, 1, vcc_lo
	v_cmp_ne_u32_e32 vcc_lo, 0, v11
	v_cmp_eq_u32_e64 s0, 3, v23
	v_and_or_b32 v9, 0xffe, v13, v9
	v_cndmask_b32_e64 v11, 0, 1, vcc_lo
	v_cmp_gt_i32_e32 vcc_lo, 31, v25
	v_sub_nc_u32_e32 v13, 0x3f1, v15
	v_add_nc_u32_e32 v15, 0xfffffc10, v15
	v_or_b32_e32 v24, 0x1000, v9
	v_lshl_or_b32 v11, v11, 9, 0x7c00
	v_cndmask_b32_e32 v7, 0x7c00, v7, vcc_lo
	v_cmp_lt_i32_e32 vcc_lo, 5, v23
	v_med3_i32 v13, v13, 0, 13
	v_mul_f16_sdwa v23, v47, v27 dst_sel:DWORD dst_unused:UNUSED_PAD src0_sel:WORD_1 src1_sel:DWORD
	v_lshl_or_b32 v31, v15, 12, v9
	s_or_b32 vcc_lo, s0, vcc_lo
	v_lshrrev_b32_e32 v28, v13, v24
	v_add_co_ci_u32_e32 v5, vcc_lo, 0, v5, vcc_lo
	v_and_or_b32 v21, 0x1ff, v22, v21
	v_cmp_gt_i32_e32 vcc_lo, 31, v26
	v_lshlrev_b32_e32 v13, v13, v28
	v_fmac_f16_e32 v23, v47, v10
	v_lshrrev_b32_e32 v29, 8, v22
	v_bfe_u32 v30, v22, 20, 11
	v_cndmask_b32_e32 v5, 0x7c00, v5, vcc_lo
	v_cmp_ne_u32_e32 vcc_lo, 0, v21
	v_cvt_f32_f16_e32 v23, v23
	v_mul_f16_sdwa v10, v47, v10 dst_sel:DWORD dst_unused:UNUSED_PAD src0_sel:WORD_1 src1_sel:DWORD
	v_cndmask_b32_e64 v21, 0, 1, vcc_lo
	v_cmp_ne_u32_e32 vcc_lo, v13, v24
	v_cvt_f64_f32_e32 v[23:24], v23
	v_fma_f16 v1, v47, v27, -v10
	v_and_or_b32 v21, 0xffe, v29, v21
	v_cndmask_b32_e64 v13, 0, 1, vcc_lo
	v_cmp_ne_u32_e32 vcc_lo, 0, v19
	v_sub_nc_u32_e32 v29, 0x3f1, v30
	v_cvt_f32_f16_e32 v1, v1
	v_or_b32_e32 v13, v28, v13
	v_cndmask_b32_e64 v19, 0, 1, vcc_lo
	v_cmp_eq_u32_e32 vcc_lo, 0x40f, v25
	v_or_b32_e32 v28, 0x1000, v21
	v_med3_i32 v29, v29, 0, 13
	v_lshl_or_b32 v19, v19, 9, 0x7c00
	v_cndmask_b32_e32 v7, v7, v11, vcc_lo
	v_cmp_gt_i32_e32 vcc_lo, 1, v15
	v_lshrrev_b32_e32 v11, v29, v28
	v_and_or_b32 v7, 0x8000, v14, v7
	v_cndmask_b32_e32 v25, v31, v13, vcc_lo
	v_cmp_eq_u32_e32 vcc_lo, 0x40f, v26
	v_lshrrev_b32_e32 v26, 16, v20
	v_mul_f64 v[13:14], v[23:24], s[2:3]
	v_add_nc_u32_e32 v23, 0xfffffc10, v30
	v_and_b32_e32 v20, 7, v25
	v_cndmask_b32_e32 v5, v5, v19, vcc_lo
	v_lshlrev_b32_e32 v19, v29, v11
	v_lshrrev_b32_e32 v24, 2, v25
	v_and_b32_e32 v7, 0xffff, v7
	v_cmp_lt_i32_e32 vcc_lo, 5, v20
	v_and_or_b32 v5, 0x8000, v26, v5
	v_cmp_ne_u32_e64 s0, v19, v28
	v_lshrrev_b32_e32 v29, 16, v16
	v_lshl_or_b32 v5, v5, 16, v7
	v_cndmask_b32_e64 v10, 0, 1, s0
	v_cmp_eq_u32_e64 s0, 3, v20
	v_cvt_f64_f32_e32 v[19:20], v1
	v_or_b32_e32 v10, v11, v10
	s_or_b32 vcc_lo, s0, vcc_lo
	v_lshl_or_b32 v11, v23, 12, v21
	v_add_co_ci_u32_e32 v1, vcc_lo, 0, v24, vcc_lo
	v_cmp_gt_i32_e32 vcc_lo, 1, v23
	v_and_or_b32 v13, 0x1ff, v14, v13
	v_cndmask_b32_e32 v11, v11, v10, vcc_lo
	v_cmp_ne_u32_e32 vcc_lo, 0, v9
	ds_read2st64_b32 v[9:10], v44 offset0:176 offset1:184
	v_cmp_ne_u32_e64 s1, 0, v13
	v_lshrrev_b32_e32 v13, 8, v14
	v_and_b32_e32 v25, 7, v11
	v_cndmask_b32_e64 v24, 0, 1, vcc_lo
	v_cmp_gt_i32_e32 vcc_lo, 31, v15
	v_lshrrev_b32_e32 v7, 2, v11
	v_mul_f64 v[19:20], v[19:20], s[2:3]
	v_cmp_eq_u32_e64 s0, 3, v25
	v_cndmask_b32_e64 v11, 0, 1, s1
	v_cndmask_b32_e32 v1, 0x7c00, v1, vcc_lo
	v_cmp_lt_i32_e32 vcc_lo, 5, v25
	v_bfe_u32 v25, v14, 20, 11
	v_lshl_or_b32 v24, v24, 9, 0x7c00
	v_and_or_b32 v11, 0xffe, v13, v11
	v_lshrrev_b32_e32 v14, 16, v14
	s_or_b32 vcc_lo, s0, vcc_lo
	v_sub_nc_u32_e32 v13, 0x3f1, v25
	v_add_co_ci_u32_e32 v7, vcc_lo, 0, v7, vcc_lo
	v_cmp_ne_u32_e32 vcc_lo, 0, v21
	s_waitcnt lgkmcnt(0)
	v_lshrrev_b32_e32 v26, 16, v9
	v_or_b32_e32 v27, 0x1000, v11
	v_med3_i32 v13, v13, 0, 13
	v_add_nc_u32_e32 v25, 0xfffffc10, v25
	v_cndmask_b32_e64 v21, 0, 1, vcc_lo
	v_cmp_gt_i32_e32 vcc_lo, 31, v23
	v_mul_f16_sdwa v28, v46, v26 dst_sel:DWORD dst_unused:UNUSED_PAD src0_sel:WORD_1 src1_sel:DWORD
	v_and_or_b32 v19, 0x1ff, v20, v19
	v_lshl_or_b32 v21, v21, 9, 0x7c00
	v_cndmask_b32_e32 v7, 0x7c00, v7, vcc_lo
	v_cmp_eq_u32_e32 vcc_lo, 0x40f, v15
	v_fmac_f16_e32 v28, v46, v9
	v_mul_f16_sdwa v9, v46, v9 dst_sel:DWORD dst_unused:UNUSED_PAD src0_sel:WORD_1 src1_sel:DWORD
	v_cndmask_b32_e32 v1, v1, v24, vcc_lo
	v_cmp_eq_u32_e32 vcc_lo, 0x40f, v23
	v_lshrrev_b32_e32 v24, v13, v27
	v_bfe_u32 v23, v20, 20, 11
	v_fma_f16 v9, v46, v26, -v9
	v_and_or_b32 v1, 0x8000, v29, v1
	v_cndmask_b32_e32 v7, v7, v21, vcc_lo
	v_add_co_u32 v15, vcc_lo, v17, s5
	v_lshrrev_b32_e32 v21, 16, v22
	v_cvt_f32_f16_e32 v22, v28
	v_add_co_ci_u32_e32 v16, vcc_lo, s4, v18, vcc_lo
	v_lshlrev_b32_e32 v13, v13, v24
	v_cmp_ne_u32_e32 vcc_lo, 0, v19
	v_cvt_f64_f32_e32 v[17:18], v22
	v_lshrrev_b32_e32 v22, 8, v20
	v_cvt_f32_f16_e32 v9, v9
	global_store_dword v[15:16], v5, off
	v_cndmask_b32_e64 v19, 0, 1, vcc_lo
	v_cmp_ne_u32_e32 vcc_lo, v13, v27
	v_and_or_b32 v7, 0x8000, v21, v7
	v_and_b32_e32 v1, 0xffff, v1
	v_and_or_b32 v19, 0xffe, v22, v19
	v_cndmask_b32_e64 v13, 0, 1, vcc_lo
	v_sub_nc_u32_e32 v22, 0x3f1, v23
	v_cmp_gt_i32_e32 vcc_lo, 1, v25
	v_lshl_or_b32 v1, v7, 16, v1
	v_or_b32_e32 v27, 0x1000, v19
	v_or_b32_e32 v13, v24, v13
	v_lshl_or_b32 v24, v25, 12, v11
	v_med3_i32 v22, v22, 0, 13
	v_add_nc_u32_e32 v7, 0xfffffc10, v23
	v_cndmask_b32_e32 v13, v24, v13, vcc_lo
	v_lshrrev_b32_e32 v24, v22, v27
	v_mul_f64 v[17:18], v[17:18], s[2:3]
	v_and_b32_e32 v26, 7, v13
	v_lshlrev_b32_e32 v5, v22, v24
	v_cvt_f64_f32_e32 v[21:22], v9
	v_lshrrev_b32_e32 v9, 2, v13
	v_lshl_or_b32 v13, v7, 12, v19
	v_cmp_lt_i32_e32 vcc_lo, 5, v26
	v_cmp_eq_u32_e64 s0, 3, v26
	v_cmp_ne_u32_e64 s1, v5, v27
	v_lshrrev_b32_e32 v26, 16, v2
	s_or_b32 vcc_lo, s0, vcc_lo
	v_cndmask_b32_e64 v5, 0, 1, s1
	v_add_co_ci_u32_e32 v9, vcc_lo, 0, v9, vcc_lo
	v_cmp_ne_u32_e32 vcc_lo, 0, v11
	v_add_co_u32 v15, s1, v15, s5
	v_or_b32_e32 v5, v24, v5
	v_and_or_b32 v17, 0x1ff, v18, v17
	v_cndmask_b32_e64 v11, 0, 1, vcc_lo
	v_cmp_gt_i32_e32 vcc_lo, 1, v7
	v_mul_f16_sdwa v24, v45, v26 dst_sel:DWORD dst_unused:UNUSED_PAD src0_sel:WORD_1 src1_sel:DWORD
	v_lshrrev_b32_e32 v23, 8, v18
	v_mul_f64 v[21:22], v[21:22], s[2:3]
	v_lshl_or_b32 v11, v11, 9, 0x7c00
	v_cndmask_b32_e32 v5, v13, v5, vcc_lo
	v_cmp_gt_i32_e32 vcc_lo, 31, v25
	v_fmac_f16_e32 v24, v45, v2
	v_bfe_u32 v27, v18, 20, 11
	v_mul_f16_sdwa v2, v45, v2 dst_sel:DWORD dst_unused:UNUSED_PAD src0_sel:WORD_1 src1_sel:DWORD
	v_and_b32_e32 v13, 7, v5
	v_cndmask_b32_e32 v9, 0x7c00, v9, vcc_lo
	v_cmp_ne_u32_e32 vcc_lo, 0, v17
	v_lshrrev_b32_e32 v5, 2, v5
	v_add_co_ci_u32_e64 v16, s1, s4, v16, s1
	v_cmp_eq_u32_e64 s0, 3, v13
	v_cndmask_b32_e64 v17, 0, 1, vcc_lo
	v_cmp_eq_u32_e32 vcc_lo, 0x40f, v25
	v_fma_f16 v2, v45, v26, -v2
	global_store_dword v[15:16], v1, off
	v_cndmask_b32_e32 v9, v9, v11, vcc_lo
	v_cmp_lt_i32_e32 vcc_lo, 5, v13
	v_and_or_b32 v11, 0xffe, v23, v17
	v_cvt_f32_f16_e32 v23, v24
	v_sub_nc_u32_e32 v17, 0x3f1, v27
	v_and_or_b32 v21, 0x1ff, v22, v21
	s_or_b32 vcc_lo, s0, vcc_lo
	v_or_b32_e32 v13, 0x1000, v11
	v_add_co_ci_u32_e32 v5, vcc_lo, 0, v5, vcc_lo
	v_cmp_ne_u32_e32 vcc_lo, 0, v19
	v_cvt_f64_f32_e32 v[23:24], v23
	v_med3_i32 v17, v17, 0, 13
	v_lshrrev_b32_e32 v28, 8, v22
	v_bfe_u32 v29, v22, 20, 11
	v_cndmask_b32_e64 v19, 0, 1, vcc_lo
	v_cmp_gt_i32_e32 vcc_lo, 31, v7
	v_lshrrev_b32_e32 v25, v17, v13
	v_and_or_b32 v9, 0x8000, v14, v9
	v_sub_nc_u32_e32 v14, 0x3f1, v29
	v_lshl_or_b32 v19, v19, 9, 0x7c00
	v_cndmask_b32_e32 v5, 0x7c00, v5, vcc_lo
	v_cmp_ne_u32_e32 vcc_lo, 0, v21
	v_lshlrev_b32_e32 v17, v17, v25
	v_add_nc_u32_e32 v27, 0xfffffc10, v27
	v_and_b32_e32 v9, 0xffff, v9
	v_cvt_f32_f16_e32 v1, v2
	v_cndmask_b32_e64 v21, 0, 1, vcc_lo
	v_cmp_eq_u32_e32 vcc_lo, 0x40f, v7
	v_lshrrev_b32_e32 v7, 16, v20
	v_med3_i32 v20, v14, 0, 13
	v_cvt_f64_f32_e32 v[1:2], v1
	v_and_or_b32 v21, 0xffe, v28, v21
	v_cndmask_b32_e32 v5, v5, v19, vcc_lo
	v_cmp_ne_u32_e32 vcc_lo, v17, v13
	v_mul_f64 v[13:14], v[23:24], s[2:3]
	v_lshl_or_b32 v23, v27, 12, v11
	v_or_b32_e32 v19, 0x1000, v21
	v_and_or_b32 v5, 0x8000, v7, v5
	v_cndmask_b32_e64 v17, 0, 1, vcc_lo
	v_cmp_gt_i32_e32 vcc_lo, 1, v27
	v_lshrrev_b32_e32 v7, v20, v19
	v_lshl_or_b32 v5, v5, 16, v9
	v_or_b32_e32 v17, v25, v17
	v_lshlrev_b32_e32 v20, v20, v7
	v_cndmask_b32_e32 v9, v23, v17, vcc_lo
	v_cmp_ne_u32_e32 vcc_lo, v20, v19
	v_add_nc_u32_e32 v19, 0xfffffc10, v29
	v_and_b32_e32 v20, 7, v9
	v_lshrrev_b32_e32 v9, 2, v9
	v_mul_f64 v[1:2], v[1:2], s[2:3]
	v_cndmask_b32_e64 v17, 0, 1, vcc_lo
	v_and_or_b32 v13, 0x1ff, v14, v13
	v_cmp_gt_i32_e64 s1, 1, v19
	v_add_co_u32 v15, vcc_lo, v15, s5
	v_or_b32_e32 v7, v7, v17
	v_lshl_or_b32 v17, v19, 12, v21
	v_add_co_ci_u32_e32 v16, vcc_lo, s4, v16, vcc_lo
	v_cmp_lt_i32_e32 vcc_lo, 5, v20
	v_cmp_eq_u32_e64 s0, 3, v20
	v_cndmask_b32_e64 v7, v17, v7, s1
	v_cmp_ne_u32_e64 s1, 0, v13
	v_lshrrev_b32_e32 v17, 8, v14
	v_bfe_u32 v20, v14, 20, 11
	s_or_b32 vcc_lo, s0, vcc_lo
	v_and_b32_e32 v23, 7, v7
	v_cndmask_b32_e64 v13, 0, 1, s1
	v_add_co_ci_u32_e32 v9, vcc_lo, 0, v9, vcc_lo
	v_cmp_ne_u32_e32 vcc_lo, 0, v11
	v_cmp_eq_u32_e64 s0, 3, v23
	v_and_or_b32 v13, 0xffe, v17, v13
	v_sub_nc_u32_e32 v17, 0x3f1, v20
	v_lshrrev_b32_e32 v7, 2, v7
	v_cndmask_b32_e64 v11, 0, 1, vcc_lo
	v_cmp_lt_i32_e32 vcc_lo, 5, v23
	v_or_b32_e32 v24, 0x1000, v13
	v_med3_i32 v17, v17, 0, 13
	v_cmp_gt_i32_e64 s1, 31, v27
	v_lshrrev_b32_e32 v23, 16, v12
	s_or_b32 vcc_lo, s0, vcc_lo
	v_lshl_or_b32 v11, v11, 9, 0x7c00
	v_add_co_ci_u32_e32 v7, vcc_lo, 0, v7, vcc_lo
	v_cndmask_b32_e64 v9, 0x7c00, v9, s1
	v_lshrrev_b32_e32 v25, v17, v24
	v_cmp_eq_u32_e32 vcc_lo, 0x40f, v27
	v_mul_f16_sdwa v26, v43, v23 dst_sel:DWORD dst_unused:UNUSED_PAD src0_sel:WORD_1 src1_sel:DWORD
	v_and_or_b32 v1, 0x1ff, v2, v1
	v_add_nc_u32_e32 v20, 0xfffffc10, v20
	v_lshlrev_b32_e32 v17, v17, v25
	v_cndmask_b32_e32 v9, v9, v11, vcc_lo
	v_cmp_gt_i32_e32 vcc_lo, 31, v19
	v_fmac_f16_e32 v26, v43, v12
	v_lshrrev_b32_e32 v11, 16, v18
	v_bfe_u32 v27, v2, 20, 11
	v_mul_f16_sdwa v12, v43, v12 dst_sel:DWORD dst_unused:UNUSED_PAD src0_sel:WORD_1 src1_sel:DWORD
	v_cndmask_b32_e32 v7, 0x7c00, v7, vcc_lo
	v_cmp_ne_u32_e32 vcc_lo, v17, v24
	v_cvt_f32_f16_e32 v17, v26
	v_lshrrev_b32_e32 v26, 8, v2
	v_fma_f16 v12, v43, v23, -v12
	v_and_or_b32 v9, 0x8000, v11, v9
	v_cndmask_b32_e64 v24, 0, 1, vcc_lo
	v_cmp_ne_u32_e32 vcc_lo, 0, v1
	v_cvt_f64_f32_e32 v[17:18], v17
	v_cvt_f32_f16_e32 v23, v12
	v_and_b32_e32 v9, 0xffff, v9
	v_or_b32_e32 v24, v25, v24
	v_cndmask_b32_e64 v1, 0, 1, vcc_lo
	v_cmp_ne_u32_e32 vcc_lo, 0, v21
	v_lshl_or_b32 v25, v20, 12, v13
	global_store_dword v[15:16], v5, off
	v_lshrrev_b32_e32 v2, 16, v2
	v_and_or_b32 v1, 0xffe, v26, v1
	v_cndmask_b32_e64 v21, 0, 1, vcc_lo
	v_cmp_gt_i32_e32 vcc_lo, 1, v20
	v_sub_nc_u32_e32 v26, 0x3f1, v27
	v_or_b32_e32 v28, 0x1000, v1
	v_lshl_or_b32 v21, v21, 9, 0x7c00
	v_cndmask_b32_e32 v24, v25, v24, vcc_lo
	v_med3_i32 v26, v26, 0, 13
	v_cmp_eq_u32_e32 vcc_lo, 0x40f, v19
	v_lshrrev_b32_e32 v19, 16, v22
	v_and_b32_e32 v22, 7, v24
	v_mul_f64 v[11:12], v[17:18], s[2:3]
	v_cndmask_b32_e32 v7, v7, v21, vcc_lo
	v_lshrrev_b32_e32 v21, v26, v28
	v_cvt_f64_f32_e32 v[17:18], v23
	v_cmp_lt_i32_e32 vcc_lo, 5, v22
	v_cmp_eq_u32_e64 s0, 3, v22
	v_lshrrev_b32_e32 v22, 2, v24
	v_and_or_b32 v7, 0x8000, v19, v7
	v_lshlrev_b32_e32 v19, v26, v21
	v_add_nc_u32_e32 v23, 0xfffffc10, v27
	s_or_b32 vcc_lo, s0, vcc_lo
	v_add_co_ci_u32_e32 v22, vcc_lo, 0, v22, vcc_lo
	v_cmp_ne_u32_e64 s1, v19, v28
	v_cmp_ne_u32_e32 vcc_lo, 0, v13
	v_lshl_or_b32 v7, v7, 16, v9
	v_cndmask_b32_e64 v19, 0, 1, s1
	v_cndmask_b32_e64 v13, 0, 1, vcc_lo
	v_cmp_gt_i32_e32 vcc_lo, 31, v20
	v_and_or_b32 v11, 0x1ff, v12, v11
	v_or_b32_e32 v19, v21, v19
	v_lshl_or_b32 v21, v23, 12, v1
	v_cndmask_b32_e32 v22, 0x7c00, v22, vcc_lo
	v_cmp_gt_i32_e32 vcc_lo, 1, v23
	v_lshl_or_b32 v13, v13, 9, 0x7c00
	v_mul_f64 v[17:18], v[17:18], s[2:3]
	v_cndmask_b32_e32 v5, v21, v19, vcc_lo
	v_cmp_eq_u32_e32 vcc_lo, 0x40f, v20
	v_bfe_u32 v20, v12, 20, 11
	v_lshrrev_b32_e32 v21, 16, v14
	v_lshrrev_b32_e32 v19, 16, v0
	v_cndmask_b32_e32 v9, v22, v13, vcc_lo
	v_cmp_ne_u32_e32 vcc_lo, 0, v11
	v_lshrrev_b32_e32 v13, 8, v12
	v_and_b32_e32 v22, 7, v5
	v_lshrrev_b32_e32 v5, 2, v5
	v_sub_nc_u32_e32 v25, 0x3f1, v20
	v_cndmask_b32_e64 v11, 0, 1, vcc_lo
	v_mul_f16_sdwa v24, v42, v19 dst_sel:DWORD dst_unused:UNUSED_PAD src0_sel:WORD_1 src1_sel:DWORD
	v_cmp_eq_u32_e64 s0, 3, v22
	v_and_or_b32 v9, 0x8000, v21, v9
	v_med3_i32 v25, v25, 0, 13
	v_and_or_b32 v11, 0xffe, v13, v11
	v_add_co_u32 v13, vcc_lo, v15, s5
	v_add_co_ci_u32_e32 v14, vcc_lo, s4, v16, vcc_lo
	v_cmp_lt_i32_e32 vcc_lo, 5, v22
	v_or_b32_e32 v26, 0x1000, v11
	v_and_or_b32 v17, 0x1ff, v18, v17
	v_fmac_f16_e32 v24, v42, v0
	v_bfe_u32 v27, v18, 20, 11
	s_or_b32 vcc_lo, s0, vcc_lo
	v_lshrrev_b32_e32 v22, v25, v26
	v_add_co_ci_u32_e32 v5, vcc_lo, 0, v5, vcc_lo
	v_cmp_ne_u32_e32 vcc_lo, 0, v1
	v_cvt_f32_f16_e32 v15, v24
	v_lshlrev_b32_e32 v24, v25, v22
	v_lshrrev_b32_e32 v25, 8, v18
	v_mul_f16_sdwa v0, v42, v0 dst_sel:DWORD dst_unused:UNUSED_PAD src0_sel:WORD_1 src1_sel:DWORD
	v_cndmask_b32_e64 v1, 0, 1, vcc_lo
	v_cmp_ne_u32_e32 vcc_lo, 0, v17
	v_cvt_f64_f32_e32 v[15:16], v15
	v_and_b32_e32 v9, 0xffff, v9
	v_fma_f16 v19, v42, v19, -v0
	v_lshl_or_b32 v1, v1, 9, 0x7c00
	v_cndmask_b32_e64 v17, 0, 1, vcc_lo
	v_cmp_gt_i32_e32 vcc_lo, 31, v23
	v_lshrrev_b32_e32 v18, 16, v18
	v_cvt_f32_f16_e32 v19, v19
	global_store_dword v[13:14], v7, off
	v_and_or_b32 v17, 0xffe, v25, v17
	v_cndmask_b32_e32 v5, 0x7c00, v5, vcc_lo
	v_sub_nc_u32_e32 v25, 0x3f1, v27
	v_cmp_ne_u32_e32 vcc_lo, v24, v26
	v_add_nc_u32_e32 v26, 0xfffffc10, v20
	v_or_b32_e32 v20, 0x1000, v17
	v_med3_i32 v25, v25, 0, 13
	v_cndmask_b32_e64 v24, 0, 1, vcc_lo
	v_cmp_eq_u32_e32 vcc_lo, 0x40f, v23
	v_lshrrev_b32_e32 v23, v25, v20
	v_mul_f64 v[15:16], v[15:16], s[2:3]
	v_cndmask_b32_e32 v1, v5, v1, vcc_lo
	v_or_b32_e32 v5, v22, v24
	v_lshl_or_b32 v22, v26, 12, v11
	v_cmp_gt_i32_e32 vcc_lo, 1, v26
	v_add_nc_u32_e32 v24, 0xfffffc10, v27
	v_and_or_b32 v2, 0x8000, v2, v1
	v_mad_u64_u32 v[0:1], null, 0xffff6000, s8, v[13:14]
	v_cndmask_b32_e32 v5, v22, v5, vcc_lo
	v_lshlrev_b32_e32 v22, v25, v23
	v_lshl_or_b32 v2, v2, 16, v9
	v_lshrrev_b32_e32 v9, 16, v6
	v_and_b32_e32 v21, 7, v5
	v_cmp_ne_u32_e64 s0, v22, v20
	v_lshrrev_b32_e32 v5, 2, v5
	v_cvt_f64_f32_e32 v[19:20], v19
	v_add_nc_u32_e32 v1, s6, v1
	v_cmp_lt_i32_e32 vcc_lo, 5, v21
	v_cndmask_b32_e64 v22, 0, 1, s0
	v_cmp_eq_u32_e64 s0, 3, v21
	v_and_or_b32 v15, 0x1ff, v16, v15
	v_bfe_u32 v25, v16, 20, 11
	global_store_dword v[0:1], v2, off
	v_or_b32_e32 v21, v23, v22
	s_or_b32 vcc_lo, s0, vcc_lo
	v_lshl_or_b32 v22, v24, 12, v17
	v_add_co_ci_u32_e32 v5, vcc_lo, 0, v5, vcc_lo
	v_cmp_ne_u32_e32 vcc_lo, 0, v11
	v_lshrrev_b32_e32 v23, 8, v16
	v_lshrrev_b32_e32 v16, 16, v16
	v_cndmask_b32_e64 v11, 0, 1, vcc_lo
	v_cmp_gt_i32_e32 vcc_lo, 1, v24
	v_mul_f64 v[19:20], v[19:20], s[2:3]
	v_lshl_or_b32 v11, v11, 9, 0x7c00
	v_cndmask_b32_e32 v21, v22, v21, vcc_lo
	v_cmp_gt_i32_e32 vcc_lo, 31, v26
	v_and_b32_e32 v22, 7, v21
	v_cndmask_b32_e32 v5, 0x7c00, v5, vcc_lo
	v_cmp_ne_u32_e32 vcc_lo, 0, v15
	v_lshrrev_b32_e32 v21, 2, v21
	v_cmp_eq_u32_e64 s0, 3, v22
	v_cndmask_b32_e64 v15, 0, 1, vcc_lo
	v_cmp_eq_u32_e32 vcc_lo, 0x40f, v26
	v_and_or_b32 v15, 0xffe, v23, v15
	v_cndmask_b32_e32 v5, v5, v11, vcc_lo
	v_cmp_lt_i32_e32 vcc_lo, 5, v22
	v_sub_nc_u32_e32 v11, 0x3f1, v25
	v_mul_f16_sdwa v23, v41, v9 dst_sel:DWORD dst_unused:UNUSED_PAD src0_sel:WORD_1 src1_sel:DWORD
	v_or_b32_e32 v22, 0x1000, v15
	s_or_b32 vcc_lo, s0, vcc_lo
	v_med3_i32 v26, v11, 0, 13
	v_add_co_ci_u32_e32 v11, vcc_lo, 0, v21, vcc_lo
	v_fmac_f16_e32 v23, v41, v6
	v_cmp_ne_u32_e32 vcc_lo, 0, v17
	v_lshrrev_b32_e32 v21, 16, v12
	v_mul_f16_sdwa v6, v41, v6 dst_sel:DWORD dst_unused:UNUSED_PAD src0_sel:WORD_1 src1_sel:DWORD
	v_cvt_f32_f16_e32 v17, v23
	v_cndmask_b32_e64 v12, 0, 1, vcc_lo
	v_cmp_gt_i32_e32 vcc_lo, 31, v24
	v_lshrrev_b32_e32 v23, v26, v22
	v_and_or_b32 v5, 0x8000, v21, v5
	v_fma_f16 v6, v41, v9, -v6
	v_lshl_or_b32 v28, v12, 9, 0x7c00
	v_cndmask_b32_e32 v27, 0x7c00, v11, vcc_lo
	v_cvt_f64_f32_e32 v[11:12], v17
	v_and_or_b32 v17, 0x1ff, v20, v19
	v_cmp_eq_u32_e32 vcc_lo, 0x40f, v24
	v_lshlrev_b32_e32 v19, v26, v23
	v_lshrrev_b32_e32 v24, 8, v20
	v_bfe_u32 v26, v20, 20, 11
	v_and_b32_e32 v5, 0xffff, v5
	v_cndmask_b32_e32 v21, v27, v28, vcc_lo
	v_cmp_ne_u32_e32 vcc_lo, 0, v17
	v_cvt_f32_f16_e32 v6, v6
	v_and_or_b32 v18, 0x8000, v18, v21
	v_cndmask_b32_e64 v17, 0, 1, vcc_lo
	v_cmp_ne_u32_e32 vcc_lo, v19, v22
	v_add_nc_u32_e32 v22, 0xfffffc10, v25
	v_lshl_or_b32 v2, v18, 16, v5
	v_and_or_b32 v17, 0xffe, v24, v17
	v_cndmask_b32_e64 v19, 0, 1, vcc_lo
	v_cmp_gt_i32_e32 vcc_lo, 1, v22
	v_sub_nc_u32_e32 v24, 0x3f1, v26
	v_mul_f64 v[11:12], v[11:12], s[2:3]
	v_or_b32_e32 v25, 0x1000, v17
	v_or_b32_e32 v19, v23, v19
	v_lshl_or_b32 v23, v22, 12, v15
	v_med3_i32 v24, v24, 0, 13
	v_add_nc_u32_e32 v18, 0xfffffc10, v26
	v_cndmask_b32_e32 v19, v23, v19, vcc_lo
	v_lshrrev_b32_e32 v21, v24, v25
	v_lshl_or_b32 v13, v18, 12, v17
	v_and_b32_e32 v7, 7, v19
	v_lshlrev_b32_e32 v5, v24, v21
	v_cmp_lt_i32_e32 vcc_lo, 5, v7
	v_cmp_eq_u32_e64 s0, 3, v7
	v_lshrrev_b32_e32 v7, 2, v19
	v_cmp_ne_u32_e64 s1, v5, v25
	v_cvt_f64_f32_e32 v[5:6], v6
	v_and_or_b32 v11, 0x1ff, v12, v11
	s_or_b32 vcc_lo, s0, vcc_lo
	v_add_co_ci_u32_e32 v7, vcc_lo, 0, v7, vcc_lo
	v_cmp_ne_u32_e32 vcc_lo, 0, v15
	v_cndmask_b32_e64 v9, 0, 1, s1
	v_bfe_u32 v15, v12, 20, 11
	v_cmp_eq_u32_e64 s1, 0x40f, v22
	v_cndmask_b32_e64 v14, 0, 1, vcc_lo
	v_add_co_u32 v0, vcc_lo, v0, s5
	v_add_co_ci_u32_e32 v1, vcc_lo, s4, v1, vcc_lo
	v_or_b32_e32 v9, v21, v9
	v_cmp_gt_i32_e32 vcc_lo, 1, v18
	v_lshrrev_b32_e32 v21, 16, v3
	v_lshl_or_b32 v14, v14, 9, 0x7c00
	global_store_dword v[0:1], v2, off
	v_cndmask_b32_e32 v9, v13, v9, vcc_lo
	v_cmp_gt_i32_e32 vcc_lo, 31, v22
	v_lshrrev_b32_e32 v13, 8, v12
	v_mul_f64 v[5:6], v[5:6], s[2:3]
	v_mul_f16_sdwa v23, v40, v21 dst_sel:DWORD dst_unused:UNUSED_PAD src0_sel:WORD_1 src1_sel:DWORD
	v_and_b32_e32 v19, 7, v9
	v_cndmask_b32_e32 v7, 0x7c00, v7, vcc_lo
	v_cmp_ne_u32_e32 vcc_lo, 0, v11
	v_lshrrev_b32_e32 v9, 2, v9
	v_fmac_f16_e32 v23, v40, v3
	v_cmp_eq_u32_e64 s0, 3, v19
	v_cndmask_b32_e64 v7, v7, v14, s1
	v_cndmask_b32_e64 v11, 0, 1, vcc_lo
	v_cmp_lt_i32_e32 vcc_lo, 5, v19
	v_cvt_f32_f16_e32 v14, v23
	v_mul_f16_sdwa v3, v40, v3 dst_sel:DWORD dst_unused:UNUSED_PAD src0_sel:WORD_1 src1_sel:DWORD
	v_and_or_b32 v7, 0x8000, v16, v7
	v_and_or_b32 v11, 0xffe, v13, v11
	v_sub_nc_u32_e32 v13, 0x3f1, v15
	s_or_b32 vcc_lo, s0, vcc_lo
	v_fma_f16 v2, v40, v21, -v3
	v_add_co_ci_u32_e32 v9, vcc_lo, 0, v9, vcc_lo
	v_or_b32_e32 v19, 0x1000, v11
	v_med3_i32 v13, v13, 0, 13
	v_cmp_ne_u32_e32 vcc_lo, 0, v17
	v_and_or_b32 v5, 0x1ff, v6, v5
	v_bfe_u32 v24, v6, 20, 11
	v_and_b32_e32 v7, 0xffff, v7
	v_lshrrev_b32_e32 v22, v13, v19
	v_cndmask_b32_e64 v17, 0, 1, vcc_lo
	v_cmp_gt_i32_e32 vcc_lo, 31, v18
	v_cvt_f32_f16_e32 v2, v2
	v_lshlrev_b32_e32 v23, v13, v22
	v_cvt_f64_f32_e32 v[13:14], v14
	v_cndmask_b32_e32 v9, 0x7c00, v9, vcc_lo
	v_lshl_or_b32 v17, v17, 9, 0x7c00
	v_cmp_ne_u32_e32 vcc_lo, v23, v19
	v_add_nc_u32_e32 v23, 0xfffffc10, v15
	v_lshrrev_b32_e32 v15, 8, v6
	v_lshrrev_b32_e32 v6, 16, v6
	v_cndmask_b32_e64 v19, 0, 1, vcc_lo
	v_cmp_ne_u32_e32 vcc_lo, 0, v5
	v_or_b32_e32 v19, v22, v19
	v_cndmask_b32_e64 v5, 0, 1, vcc_lo
	v_cmp_eq_u32_e32 vcc_lo, 0x40f, v18
	v_lshl_or_b32 v22, v23, 12, v11
	v_and_or_b32 v5, 0xffe, v15, v5
	v_sub_nc_u32_e32 v15, 0x3f1, v24
	v_cndmask_b32_e32 v9, v9, v17, vcc_lo
	v_cmp_gt_i32_e32 vcc_lo, 1, v23
	v_lshrrev_b32_e32 v17, 16, v20
	v_mul_f64 v[13:14], v[13:14], s[2:3]
	v_med3_i32 v15, v15, 0, 13
	v_lshrrev_b32_e32 v20, 16, v8
	v_cndmask_b32_e32 v18, v22, v19, vcc_lo
	v_or_b32_e32 v19, 0x1000, v5
	v_and_or_b32 v9, 0x8000, v17, v9
	v_mul_f16_sdwa v21, v39, v20 dst_sel:DWORD dst_unused:UNUSED_PAD src0_sel:WORD_1 src1_sel:DWORD
	v_and_b32_e32 v16, 7, v18
	v_lshrrev_b32_e32 v17, v15, v19
	v_lshl_or_b32 v7, v9, 16, v7
	v_lshrrev_b32_e32 v9, 2, v18
	v_add_nc_u32_e32 v18, 0xfffffc10, v24
	v_cmp_lt_i32_e32 vcc_lo, 5, v16
	v_lshlrev_b32_e32 v3, v15, v17
	v_cmp_eq_u32_e64 s0, 3, v16
	v_fmac_f16_e32 v21, v39, v8
	v_lshl_or_b32 v16, v18, 12, v5
	v_cmp_ne_u32_e64 s1, v3, v19
	s_or_b32 vcc_lo, s0, vcc_lo
	v_cvt_f64_f32_e32 v[2:3], v2
	v_add_co_ci_u32_e32 v9, vcc_lo, 0, v9, vcc_lo
	v_cndmask_b32_e64 v15, 0, 1, s1
	v_cmp_ne_u32_e32 vcc_lo, 0, v11
	v_and_or_b32 v13, 0x1ff, v14, v13
	v_cvt_f32_f16_e32 v21, v21
	v_or_b32_e32 v15, v17, v15
	v_cndmask_b32_e64 v11, 0, 1, vcc_lo
	v_cmp_gt_i32_e32 vcc_lo, 1, v18
	v_bfe_u32 v17, v14, 20, 11
	v_lshl_or_b32 v11, v11, 9, 0x7c00
	v_cndmask_b32_e32 v15, v16, v15, vcc_lo
	v_cmp_ne_u32_e32 vcc_lo, 0, v13
	v_lshrrev_b32_e32 v16, 8, v14
	v_lshrrev_b32_e32 v14, 16, v14
	v_and_b32_e32 v19, 7, v15
	v_cndmask_b32_e64 v13, 0, 1, vcc_lo
	v_cmp_gt_i32_e32 vcc_lo, 31, v23
	v_lshrrev_b32_e32 v15, 2, v15
	v_mul_f64 v[2:3], v[2:3], s[2:3]
	v_cmp_eq_u32_e64 s0, 3, v19
	v_and_or_b32 v13, 0xffe, v16, v13
	v_cndmask_b32_e32 v9, 0x7c00, v9, vcc_lo
	v_cmp_lt_i32_e32 vcc_lo, 5, v19
	v_sub_nc_u32_e32 v16, 0x3f1, v17
	v_add_nc_u32_e32 v17, 0xfffffc10, v17
	v_or_b32_e32 v22, 0x1000, v13
	s_or_b32 vcc_lo, s0, vcc_lo
	v_med3_i32 v16, v16, 0, 13
	v_add_co_ci_u32_e32 v24, vcc_lo, 0, v15, vcc_lo
	v_add_co_u32 v0, vcc_lo, v0, s5
	v_add_co_ci_u32_e32 v1, vcc_lo, s4, v1, vcc_lo
	v_lshrrev_b32_e32 v19, v16, v22
	v_cmp_ne_u32_e32 vcc_lo, 0, v5
	global_store_dword v[0:1], v7, off
	v_add_co_u32 v0, s1, v0, s5
	v_lshlrev_b32_e32 v25, v16, v19
	v_cvt_f64_f32_e32 v[15:16], v21
	v_cndmask_b32_e64 v5, 0, 1, vcc_lo
	v_cmp_eq_u32_e32 vcc_lo, 0x40f, v23
	v_and_or_b32 v2, 0x1ff, v3, v2
	v_add_co_ci_u32_e64 v1, s1, s4, v1, s1
	v_lshl_or_b32 v5, v5, 9, 0x7c00
	v_cndmask_b32_e32 v9, v9, v11, vcc_lo
	v_cmp_gt_i32_e32 vcc_lo, 31, v18
	v_cndmask_b32_e32 v11, 0x7c00, v24, vcc_lo
	v_cmp_ne_u32_e32 vcc_lo, v25, v22
	v_lshrrev_b32_e32 v22, 16, v12
	v_cndmask_b32_e64 v21, 0, 1, vcc_lo
	v_cmp_eq_u32_e32 vcc_lo, 0x40f, v18
	v_and_or_b32 v9, 0x8000, v22, v9
	v_or_b32_e32 v18, v19, v21
	v_cndmask_b32_e32 v5, v11, v5, vcc_lo
	v_cmp_ne_u32_e32 vcc_lo, 0, v2
	v_mul_f64 v[11:12], v[15:16], s[2:3]
	v_lshrrev_b32_e32 v19, 8, v3
	v_bfe_u32 v21, v3, 20, 11
	v_lshl_or_b32 v15, v17, 12, v13
	v_cndmask_b32_e64 v2, 0, 1, vcc_lo
	v_cmp_gt_i32_e32 vcc_lo, 1, v17
	v_and_or_b32 v5, 0x8000, v6, v5
	v_lshrrev_b32_e32 v3, 16, v3
	v_and_or_b32 v16, 0xffe, v19, v2
	v_sub_nc_u32_e32 v2, 0x3f1, v21
	v_cndmask_b32_e32 v15, v15, v18, vcc_lo
	v_or_b32_e32 v18, 0x1000, v16
	v_med3_i32 v6, v2, 0, 13
	v_mul_f16_sdwa v2, v39, v8 dst_sel:DWORD dst_unused:UNUSED_PAD src0_sel:WORD_1 src1_sel:DWORD
	v_and_b32_e32 v8, 0xffff, v9
	v_and_b32_e32 v9, 7, v15
	v_lshrrev_b32_e32 v7, v6, v18
	v_fma_f16 v19, v39, v20, -v2
	v_lshl_or_b32 v2, v5, 16, v8
	v_cmp_lt_i32_e32 vcc_lo, 5, v9
	v_cmp_eq_u32_e64 s0, 3, v9
	v_and_or_b32 v9, 0x1ff, v12, v11
	v_cvt_f32_f16_e32 v5, v19
	v_lshlrev_b32_e32 v8, v6, v7
	v_lshrrev_b32_e32 v11, 2, v15
	v_lshrrev_b32_e32 v15, 8, v12
	v_cmp_ne_u32_e64 s1, 0, v9
	v_cvt_f64_f32_e32 v[5:6], v5
	v_bfe_u32 v19, v12, 20, 11
	s_or_b32 vcc_lo, s0, vcc_lo
	v_cndmask_b32_e64 v9, 0, 1, s1
	v_cmp_ne_u32_e64 s1, v8, v18
	v_add_nc_u32_e32 v18, 0xfffffc10, v21
	v_add_co_ci_u32_e32 v11, vcc_lo, 0, v11, vcc_lo
	v_and_or_b32 v9, 0xffe, v15, v9
	v_cndmask_b32_e64 v8, 0, 1, s1
	v_sub_nc_u32_e32 v15, 0x3f1, v19
	v_cmp_gt_i32_e32 vcc_lo, 1, v18
	v_lshrrev_b32_e32 v21, 16, v4
	v_or_b32_e32 v20, 0x1000, v9
	v_or_b32_e32 v7, v7, v8
	v_lshl_or_b32 v8, v18, 12, v16
	v_med3_i32 v15, v15, 0, 13
	v_mul_f16_sdwa v22, v38, v21 dst_sel:DWORD dst_unused:UNUSED_PAD src0_sel:WORD_1 src1_sel:DWORD
	v_cmp_eq_u32_e64 s1, 0x40f, v17
	v_add_nc_u32_e32 v19, 0xfffffc10, v19
	v_cndmask_b32_e32 v7, v8, v7, vcc_lo
	v_cmp_ne_u32_e32 vcc_lo, 0, v13
	v_mul_f64 v[5:6], v[5:6], s[2:3]
	v_lshrrev_b32_e32 v13, v15, v20
	v_fmac_f16_e32 v22, v38, v4
	v_and_b32_e32 v23, 7, v7
	v_cndmask_b32_e64 v8, 0, 1, vcc_lo
	v_cmp_gt_i32_e32 vcc_lo, 31, v17
	v_lshlrev_b32_e32 v15, v15, v13
	v_lshrrev_b32_e32 v17, 2, v7
	v_cmp_eq_u32_e64 s0, 3, v23
	v_lshl_or_b32 v8, v8, 9, 0x7c00
	v_cndmask_b32_e32 v11, 0x7c00, v11, vcc_lo
	v_cmp_lt_i32_e32 vcc_lo, 5, v23
	v_mul_f16_sdwa v4, v38, v4 dst_sel:DWORD dst_unused:UNUSED_PAD src0_sel:WORD_1 src1_sel:DWORD
	v_cndmask_b32_e64 v11, v11, v8, s1
	v_cmp_ne_u32_e64 s1, v15, v20
	v_cvt_f32_f16_e32 v8, v22
	s_or_b32 vcc_lo, s0, vcc_lo
	v_fma_f16 v4, v38, v21, -v4
	v_add_co_ci_u32_e32 v17, vcc_lo, 0, v17, vcc_lo
	v_cndmask_b32_e64 v15, 0, 1, s1
	v_cmp_ne_u32_e32 vcc_lo, 0, v16
	v_cvt_f64_f32_e32 v[7:8], v8
	v_and_or_b32 v5, 0x1ff, v6, v5
	v_bfe_u32 v20, v6, 20, 11
	v_or_b32_e32 v13, v13, v15
	v_lshl_or_b32 v15, v19, 12, v9
	v_cndmask_b32_e64 v16, 0, 1, vcc_lo
	v_cmp_gt_i32_e32 vcc_lo, 1, v19
	v_and_or_b32 v11, 0x8000, v14, v11
	v_lshl_or_b32 v16, v16, 9, 0x7c00
	v_cndmask_b32_e32 v13, v15, v13, vcc_lo
	v_cmp_ne_u32_e32 vcc_lo, 0, v5
	v_lshrrev_b32_e32 v15, 8, v6
	v_and_b32_e32 v11, 0xffff, v11
	v_and_b32_e32 v22, 7, v13
	v_cndmask_b32_e64 v5, 0, 1, vcc_lo
	v_cmp_gt_i32_e32 vcc_lo, 31, v18
	v_lshrrev_b32_e32 v13, 2, v13
	v_cmp_eq_u32_e64 s0, 3, v22
	v_and_or_b32 v5, 0xffe, v15, v5
	v_cndmask_b32_e32 v17, 0x7c00, v17, vcc_lo
	v_sub_nc_u32_e32 v15, 0x3f1, v20
	v_cmp_eq_u32_e32 vcc_lo, 0x40f, v18
	v_mul_f64 v[7:8], v[7:8], s[2:3]
	v_med3_i32 v15, v15, 0, 13
	v_cndmask_b32_e32 v16, v17, v16, vcc_lo
	v_or_b32_e32 v17, 0x1000, v5
	v_cmp_lt_i32_e32 vcc_lo, 5, v22
	v_and_or_b32 v3, 0x8000, v3, v16
	v_lshrrev_b32_e32 v14, v15, v17
	s_or_b32 vcc_lo, s0, vcc_lo
	v_add_co_ci_u32_e32 v13, vcc_lo, 0, v13, vcc_lo
	v_lshlrev_b32_e32 v15, v15, v14
	v_cmp_ne_u32_e32 vcc_lo, 0, v9
	v_lshl_or_b32 v16, v3, 16, v11
	v_cvt_f32_f16_e32 v3, v4
	v_cndmask_b32_e64 v9, 0, 1, vcc_lo
	v_cmp_ne_u32_e32 vcc_lo, v15, v17
	v_and_or_b32 v7, 0x1ff, v8, v7
	v_add_nc_u32_e32 v15, 0xfffffc10, v20
	v_lshrrev_b32_e32 v17, 16, v10
	v_lshrrev_b32_e32 v18, 8, v8
	v_cndmask_b32_e64 v11, 0, 1, vcc_lo
	v_cmp_gt_i32_e32 vcc_lo, 31, v19
	v_bfe_u32 v20, v8, 20, 11
	v_mul_f16_sdwa v21, v37, v17 dst_sel:DWORD dst_unused:UNUSED_PAD src0_sel:WORD_1 src1_sel:DWORD
	v_cvt_f64_f32_e32 v[3:4], v3
	v_or_b32_e32 v11, v14, v11
	v_cndmask_b32_e32 v13, 0x7c00, v13, vcc_lo
	v_cmp_ne_u32_e32 vcc_lo, 0, v7
	v_lshl_or_b32 v14, v15, 12, v5
	v_fmac_f16_e32 v21, v37, v10
	v_lshl_or_b32 v9, v9, 9, 0x7c00
	v_mul_f16_sdwa v10, v37, v10 dst_sel:DWORD dst_unused:UNUSED_PAD src0_sel:WORD_1 src1_sel:DWORD
	v_cndmask_b32_e64 v7, 0, 1, vcc_lo
	v_cmp_gt_i32_e32 vcc_lo, 1, v15
	v_lshrrev_b32_e32 v8, 16, v8
	v_fma_f16 v10, v37, v17, -v10
	v_and_or_b32 v7, 0xffe, v18, v7
	v_sub_nc_u32_e32 v18, 0x3f1, v20
	v_cndmask_b32_e32 v11, v14, v11, vcc_lo
	v_cmp_eq_u32_e32 vcc_lo, 0x40f, v19
	v_cvt_f32_f16_e32 v14, v21
	v_or_b32_e32 v22, 0x1000, v7
	v_med3_i32 v18, v18, 0, 13
	v_and_b32_e32 v23, 7, v11
	v_cndmask_b32_e32 v19, v13, v9, vcc_lo
	v_cvt_f64_f32_e32 v[13:14], v14
	v_lshrrev_b32_e32 v11, 2, v11
	v_lshrrev_b32_e32 v9, v18, v22
	v_cmp_lt_i32_e32 vcc_lo, 5, v23
	v_cmp_eq_u32_e64 s0, 3, v23
	v_lshrrev_b32_e32 v21, 16, v12
	v_mul_f64 v[3:4], v[3:4], s[2:3]
	v_lshlrev_b32_e32 v12, v18, v9
	v_add_nc_u32_e32 v17, 0xfffffc10, v20
	s_or_b32 vcc_lo, s0, vcc_lo
	v_cvt_f32_f16_e32 v10, v10
	v_add_co_ci_u32_e32 v11, vcc_lo, 0, v11, vcc_lo
	v_cmp_ne_u32_e32 vcc_lo, v12, v22
	v_lshl_or_b32 v20, v17, 12, v7
	v_and_or_b32 v19, 0x8000, v21, v19
	v_cndmask_b32_e64 v12, 0, 1, vcc_lo
	v_cmp_ne_u32_e32 vcc_lo, 0, v5
	v_and_b32_e32 v19, 0xffff, v19
	v_or_b32_e32 v18, v9, v12
	v_cndmask_b32_e64 v5, 0, 1, vcc_lo
	v_cmp_gt_i32_e32 vcc_lo, 31, v15
	v_cvt_f64_f32_e32 v[9:10], v10
	v_and_or_b32 v3, 0x1ff, v4, v3
	v_lshl_or_b32 v5, v5, 9, 0x7c00
	v_cndmask_b32_e32 v22, 0x7c00, v11, vcc_lo
	v_mul_f64 v[11:12], v[13:14], s[2:3]
	v_add_co_u32 v13, vcc_lo, v0, s5
	v_add_co_ci_u32_e32 v14, vcc_lo, s4, v1, vcc_lo
	v_cmp_gt_i32_e32 vcc_lo, 1, v17
	v_cndmask_b32_e32 v18, v20, v18, vcc_lo
	v_cmp_eq_u32_e32 vcc_lo, 0x40f, v15
	v_bfe_u32 v20, v4, 20, 11
	v_and_b32_e32 v23, 7, v18
	v_cndmask_b32_e32 v15, v22, v5, vcc_lo
	v_cmp_ne_u32_e32 vcc_lo, 0, v3
	v_lshrrev_b32_e32 v5, 8, v4
	v_lshrrev_b32_e32 v22, 16, v6
	v_sub_nc_u32_e32 v21, 0x3f1, v20
	v_cmp_eq_u32_e64 s0, 3, v23
	v_cndmask_b32_e64 v3, 0, 1, vcc_lo
	v_cmp_lt_i32_e32 vcc_lo, 5, v23
	v_lshrrev_b32_e32 v18, 2, v18
	v_and_or_b32 v11, 0x1ff, v12, v11
	v_bfe_u32 v23, v12, 20, 11
	v_and_or_b32 v3, 0xffe, v5, v3
	v_mul_f64 v[5:6], v[9:10], s[2:3]
	v_and_or_b32 v9, 0x8000, v22, v15
	v_med3_i32 v15, v21, 0, 13
	s_or_b32 vcc_lo, s0, vcc_lo
	v_or_b32_e32 v10, 0x1000, v3
	v_add_co_ci_u32_e32 v18, vcc_lo, 0, v18, vcc_lo
	v_cmp_ne_u32_e32 vcc_lo, 0, v11
	v_lshrrev_b32_e32 v22, 8, v12
	v_lshrrev_b32_e32 v21, v15, v10
	;; [unrolled: 1-line block ×3, first 2 shown]
	v_lshl_or_b32 v9, v9, 16, v19
	v_cndmask_b32_e64 v11, 0, 1, vcc_lo
	v_cmp_ne_u32_e32 vcc_lo, 0, v7
	v_lshlrev_b32_e32 v15, v15, v21
	v_and_or_b32 v11, 0xffe, v22, v11
	v_cndmask_b32_e64 v7, 0, 1, vcc_lo
	v_cmp_ne_u32_e32 vcc_lo, v15, v10
	v_sub_nc_u32_e32 v22, 0x3f1, v23
	v_add_nc_u32_e32 v15, 0xfffffc10, v20
	v_and_or_b32 v5, 0x1ff, v6, v5
	v_or_b32_e32 v20, 0x1000, v11
	v_cndmask_b32_e64 v10, 0, 1, vcc_lo
	v_cmp_gt_i32_e32 vcc_lo, 31, v17
	v_med3_i32 v22, v22, 0, 13
	v_lshrrev_b32_e32 v24, 8, v6
	v_bfe_u32 v25, v6, 20, 11
	v_or_b32_e32 v10, v21, v10
	v_cndmask_b32_e32 v18, 0x7c00, v18, vcc_lo
	v_cmp_ne_u32_e32 vcc_lo, 0, v5
	v_lshl_or_b32 v21, v15, 12, v3
	v_lshrrev_b32_e32 v26, v22, v20
	v_lshl_or_b32 v7, v7, 9, 0x7c00
	v_lshrrev_b32_e32 v6, 16, v6
	v_cndmask_b32_e64 v5, 0, 1, vcc_lo
	v_cmp_gt_i32_e32 vcc_lo, 1, v15
	v_and_or_b32 v5, 0xffe, v24, v5
	v_sub_nc_u32_e32 v24, 0x3f1, v25
	v_cndmask_b32_e32 v10, v21, v10, vcc_lo
	v_lshlrev_b32_e32 v21, v22, v26
	v_cmp_eq_u32_e32 vcc_lo, 0x40f, v17
	v_or_b32_e32 v22, 0x1000, v5
	v_med3_i32 v24, v24, 0, 13
	v_and_b32_e32 v27, 7, v10
	v_lshrrev_b32_e32 v10, 2, v10
	v_cndmask_b32_e32 v7, v18, v7, vcc_lo
	v_cmp_ne_u32_e32 vcc_lo, v21, v20
	v_add_nc_u32_e32 v18, 0xfffffc10, v23
	v_lshrrev_b32_e32 v20, v24, v22
	v_cmp_eq_u32_e64 s0, 3, v27
	v_and_or_b32 v7, 0x8000, v8, v7
	v_cndmask_b32_e64 v17, 0, 1, vcc_lo
	v_lshl_or_b32 v21, v18, 12, v11
	v_lshlrev_b32_e32 v23, v24, v20
	v_cmp_gt_i32_e64 s1, 1, v18
	v_cmp_lt_i32_e32 vcc_lo, 5, v27
	v_or_b32_e32 v17, v26, v17
	v_and_b32_e32 v7, 0xffff, v7
	s_or_b32 vcc_lo, s0, vcc_lo
	v_cndmask_b32_e64 v17, v21, v17, s1
	v_cmp_ne_u32_e64 s1, v23, v22
	v_add_nc_u32_e32 v22, 0xfffffc10, v25
	v_add_co_ci_u32_e32 v10, vcc_lo, 0, v10, vcc_lo
	v_and_b32_e32 v23, 7, v17
	v_cndmask_b32_e64 v21, 0, 1, s1
	v_cmp_ne_u32_e32 vcc_lo, 0, v3
	v_cmp_gt_i32_e64 s0, 1, v22
	v_lshrrev_b32_e32 v17, 2, v17
	v_cmp_gt_i32_e64 s1, 31, v15
	v_or_b32_e32 v20, v20, v21
	v_lshl_or_b32 v21, v22, 12, v5
	v_cndmask_b32_e64 v3, 0, 1, vcc_lo
	v_cmp_lt_i32_e32 vcc_lo, 5, v23
	v_cndmask_b32_e64 v10, 0x7c00, v10, s1
	v_cmp_eq_u32_e64 s1, 0x40f, v15
	v_cndmask_b32_e64 v8, v21, v20, s0
	v_cmp_eq_u32_e64 s0, 3, v23
	v_lshl_or_b32 v3, v3, 9, 0x7c00
	v_and_b32_e32 v20, 7, v8
	s_or_b32 vcc_lo, s0, vcc_lo
	v_lshrrev_b32_e32 v8, 2, v8
	v_add_co_ci_u32_e32 v17, vcc_lo, 0, v17, vcc_lo
	v_cmp_ne_u32_e32 vcc_lo, 0, v11
	v_cmp_eq_u32_e64 s0, 3, v20
	v_cndmask_b32_e64 v3, v10, v3, s1
	v_cmp_gt_i32_e64 s1, 31, v18
	v_cndmask_b32_e64 v11, 0, 1, vcc_lo
	v_cmp_lt_i32_e32 vcc_lo, 5, v20
	v_cndmask_b32_e64 v10, 0x7c00, v17, s1
	v_lshl_or_b32 v11, v11, 9, 0x7c00
	s_or_b32 vcc_lo, s0, vcc_lo
	v_add_co_ci_u32_e32 v8, vcc_lo, 0, v8, vcc_lo
	v_cmp_ne_u32_e32 vcc_lo, 0, v5
	v_cndmask_b32_e64 v5, 0, 1, vcc_lo
	v_cmp_eq_u32_e32 vcc_lo, 0x40f, v18
	v_lshl_or_b32 v5, v5, 9, 0x7c00
	v_cndmask_b32_e32 v10, v10, v11, vcc_lo
	v_cmp_gt_i32_e32 vcc_lo, 31, v22
	v_lshrrev_b32_e32 v11, 16, v12
	v_and_or_b32 v12, 0x8000, v4, v3
	v_cndmask_b32_e32 v8, 0x7c00, v8, vcc_lo
	v_cmp_eq_u32_e32 vcc_lo, 0x40f, v22
	v_and_or_b32 v10, 0x8000, v11, v10
	v_lshl_or_b32 v11, v12, 16, v7
	v_cndmask_b32_e32 v5, v8, v5, vcc_lo
	v_add_co_u32 v3, vcc_lo, v13, s5
	v_add_co_ci_u32_e32 v4, vcc_lo, s4, v14, vcc_lo
	v_and_or_b32 v7, 0x8000, v6, v5
	v_and_b32_e32 v8, 0xffff, v10
	v_add_co_u32 v5, vcc_lo, v3, s5
	v_add_co_ci_u32_e32 v6, vcc_lo, s4, v4, vcc_lo
	v_lshl_or_b32 v10, v7, 16, v8
	v_add_co_u32 v7, vcc_lo, v5, s5
	v_add_co_ci_u32_e32 v8, vcc_lo, s4, v6, vcc_lo
	global_store_dword v[0:1], v2, off
	global_store_dword v[13:14], v16, off
	;; [unrolled: 1-line block ×5, first 2 shown]
.LBB0_2:
	s_endpgm
	.section	.rodata,"a",@progbits
	.p2align	6, 0x0
	.amdhsa_kernel bluestein_single_back_len12288_dim1_half_op_CI_CI
		.amdhsa_group_segment_fixed_size 49152
		.amdhsa_private_segment_fixed_size 0
		.amdhsa_kernarg_size 104
		.amdhsa_user_sgpr_count 6
		.amdhsa_user_sgpr_private_segment_buffer 1
		.amdhsa_user_sgpr_dispatch_ptr 0
		.amdhsa_user_sgpr_queue_ptr 0
		.amdhsa_user_sgpr_kernarg_segment_ptr 1
		.amdhsa_user_sgpr_dispatch_id 0
		.amdhsa_user_sgpr_flat_scratch_init 0
		.amdhsa_user_sgpr_private_segment_size 0
		.amdhsa_wavefront_size32 1
		.amdhsa_uses_dynamic_stack 0
		.amdhsa_system_sgpr_private_segment_wavefront_offset 0
		.amdhsa_system_sgpr_workgroup_id_x 1
		.amdhsa_system_sgpr_workgroup_id_y 0
		.amdhsa_system_sgpr_workgroup_id_z 0
		.amdhsa_system_sgpr_workgroup_info 0
		.amdhsa_system_vgpr_workitem_id 0
		.amdhsa_next_free_vgpr 187
		.amdhsa_next_free_sgpr 20
		.amdhsa_reserve_vcc 1
		.amdhsa_reserve_flat_scratch 0
		.amdhsa_float_round_mode_32 0
		.amdhsa_float_round_mode_16_64 0
		.amdhsa_float_denorm_mode_32 3
		.amdhsa_float_denorm_mode_16_64 3
		.amdhsa_dx10_clamp 1
		.amdhsa_ieee_mode 1
		.amdhsa_fp16_overflow 0
		.amdhsa_workgroup_processor_mode 1
		.amdhsa_memory_ordered 1
		.amdhsa_forward_progress 0
		.amdhsa_shared_vgpr_count 0
		.amdhsa_exception_fp_ieee_invalid_op 0
		.amdhsa_exception_fp_denorm_src 0
		.amdhsa_exception_fp_ieee_div_zero 0
		.amdhsa_exception_fp_ieee_overflow 0
		.amdhsa_exception_fp_ieee_underflow 0
		.amdhsa_exception_fp_ieee_inexact 0
		.amdhsa_exception_int_div_zero 0
	.end_amdhsa_kernel
	.text
.Lfunc_end0:
	.size	bluestein_single_back_len12288_dim1_half_op_CI_CI, .Lfunc_end0-bluestein_single_back_len12288_dim1_half_op_CI_CI
                                        ; -- End function
	.section	.AMDGPU.csdata,"",@progbits
; Kernel info:
; codeLenInByte = 35968
; NumSgprs: 22
; NumVgprs: 187
; ScratchSize: 0
; MemoryBound: 0
; FloatMode: 240
; IeeeMode: 1
; LDSByteSize: 49152 bytes/workgroup (compile time only)
; SGPRBlocks: 2
; VGPRBlocks: 23
; NumSGPRsForWavesPerEU: 22
; NumVGPRsForWavesPerEU: 187
; Occupancy: 5
; WaveLimiterHint : 1
; COMPUTE_PGM_RSRC2:SCRATCH_EN: 0
; COMPUTE_PGM_RSRC2:USER_SGPR: 6
; COMPUTE_PGM_RSRC2:TRAP_HANDLER: 0
; COMPUTE_PGM_RSRC2:TGID_X_EN: 1
; COMPUTE_PGM_RSRC2:TGID_Y_EN: 0
; COMPUTE_PGM_RSRC2:TGID_Z_EN: 0
; COMPUTE_PGM_RSRC2:TIDIG_COMP_CNT: 0
	.text
	.p2alignl 6, 3214868480
	.fill 48, 4, 3214868480
	.type	__hip_cuid_3d8ccf040b27d782,@object ; @__hip_cuid_3d8ccf040b27d782
	.section	.bss,"aw",@nobits
	.globl	__hip_cuid_3d8ccf040b27d782
__hip_cuid_3d8ccf040b27d782:
	.byte	0                               ; 0x0
	.size	__hip_cuid_3d8ccf040b27d782, 1

	.ident	"AMD clang version 19.0.0git (https://github.com/RadeonOpenCompute/llvm-project roc-6.4.0 25133 c7fe45cf4b819c5991fe208aaa96edf142730f1d)"
	.section	".note.GNU-stack","",@progbits
	.addrsig
	.addrsig_sym __hip_cuid_3d8ccf040b27d782
	.amdgpu_metadata
---
amdhsa.kernels:
  - .args:
      - .actual_access:  read_only
        .address_space:  global
        .offset:         0
        .size:           8
        .value_kind:     global_buffer
      - .actual_access:  read_only
        .address_space:  global
        .offset:         8
        .size:           8
        .value_kind:     global_buffer
      - .actual_access:  read_only
        .address_space:  global
        .offset:         16
        .size:           8
        .value_kind:     global_buffer
      - .actual_access:  read_only
        .address_space:  global
        .offset:         24
        .size:           8
        .value_kind:     global_buffer
      - .actual_access:  read_only
        .address_space:  global
        .offset:         32
        .size:           8
        .value_kind:     global_buffer
      - .offset:         40
        .size:           8
        .value_kind:     by_value
      - .address_space:  global
        .offset:         48
        .size:           8
        .value_kind:     global_buffer
      - .address_space:  global
        .offset:         56
        .size:           8
        .value_kind:     global_buffer
      - .address_space:  global
        .offset:         64
        .size:           8
        .value_kind:     global_buffer
      - .address_space:  global
        .offset:         72
        .size:           8
        .value_kind:     global_buffer
      - .offset:         80
        .size:           4
        .value_kind:     by_value
      - .address_space:  global
        .offset:         88
        .size:           8
        .value_kind:     global_buffer
      - .address_space:  global
        .offset:         96
        .size:           8
        .value_kind:     global_buffer
    .group_segment_fixed_size: 49152
    .kernarg_segment_align: 8
    .kernarg_segment_size: 104
    .language:       OpenCL C
    .language_version:
      - 2
      - 0
    .max_flat_workgroup_size: 512
    .name:           bluestein_single_back_len12288_dim1_half_op_CI_CI
    .private_segment_fixed_size: 0
    .sgpr_count:     22
    .sgpr_spill_count: 0
    .symbol:         bluestein_single_back_len12288_dim1_half_op_CI_CI.kd
    .uniform_work_group_size: 1
    .uses_dynamic_stack: false
    .vgpr_count:     187
    .vgpr_spill_count: 0
    .wavefront_size: 32
    .workgroup_processor_mode: 1
amdhsa.target:   amdgcn-amd-amdhsa--gfx1030
amdhsa.version:
  - 1
  - 2
...

	.end_amdgpu_metadata
